;; amdgpu-corpus repo=ROCm/aiter kind=harvested arch=n/a opt=n/a

/root/src/amdgpu-assembly/repos/ROCm__aiter/hsa/gfx950/bf16gemm/bf16gemm_fp32bf16_tn_96x64_bshuffle_splitk.co:	file format elf64-amdgpu

Disassembly of section .text:

0000000000002900 <_ZN5aiter42bf16gemm_fp32bf16_tn_96x64_bshuffle_splitkE>:
	s_mov_b32 s49, s4                                          // 000000002900: BEB10004
	s_and_b32 s1, s1, 0xffff                                   // 000000002904: 8601FF01 0000FFFF
	s_load_dword s25, s[0:1], 0xe0                             // 00000000290C: C0020640 000000E0
	s_load_dword s26, s[0:1], 0xf0                             // 000000002914: C0020680 000000F0
	s_load_dword s27, s[0:1], 0x100                            // 00000000291C: C00206C0 00000100
	s_load_dword s28, s[0:1], 0xa0                             // 000000002924: C0020700 000000A0
	s_load_dword s29, s[0:1], 0xc0                             // 00000000292C: C0020740 000000C0
	s_load_dword s30, s[0:1], 0x80                             // 000000002934: C0020780 00000080
	s_load_dword s20, s[0:1], 0x40                             // 00000000293C: C0020500 00000040
	s_load_dword s21, s[0:1], 0x50                             // 000000002944: C0020540 00000050
	s_load_dwordx2 s[4:5], s[0:1], 0x20                        // 00000000294C: C0060100 00000020
	s_load_dwordx2 s[8:9], s[0:1], 0x30                        // 000000002954: C0060200 00000030
	s_load_dwordx2 s[12:13], s[0:1], 0x10                      // 00000000295C: C0060300 00000010
	s_load_dwordx2 s[16:17], s[0:1], 0x0                       // 000000002964: C0060400 00000000
	s_load_dword s48, s[0:1], 0x110                            // 00000000296C: C0020C00 00000110
	s_load_dword s50, s[0:1], 0x120                            // 000000002974: C0020C80 00000120
	s_load_dwordx2 s[36:37], s[0:1], 0x130                     // 00000000297C: C0060900 00000130
	s_load_dword s57, s[0:1], 0x140                            // 000000002984: C0020E40 00000140
	v_lshrrev_b32_e32 v1, 10, v0                               // 00000000298C: 2002008A
	v_lshrrev_b32_e32 v2, 10, v1                               // 000000002990: 2004028A
	v_and_b32_e32 v2, 0x3ff, v2                                // 000000002994: 260404FF 000003FF
	v_and_b32_e32 v1, 0x3ff, v1                                // 00000000299C: 260202FF 000003FF
	v_and_b32_e32 v0, 0x3ff, v0                                // 0000000029A4: 260000FF 000003FF
	v_lshrrev_b32_e32 v3, 6, v0                                // 0000000029AC: 20060086
	v_and_b32_e32 v0, 63, v0                                   // 0000000029B0: 260000BF
	s_mov_b32 s22, s2                                          // 0000000029B4: BE960002
	s_mov_b32 s23, s3                                          // 0000000029B8: BE970003
	v_readfirstlane_b32 s24, v3                                // 0000000029BC: 7E300503
	s_waitcnt lgkmcnt(0)                                       // 0000000029C0: BF8CC07F
	s_mov_b32 s18, -16                                         // 0000000029C4: BE9200D0
	s_mov_b32 s14, -16                                         // 0000000029C8: BE8E00D0
	s_mov_b32 s10, -16                                         // 0000000029CC: BE8A00D0
	s_mov_b32 s6, -16                                          // 0000000029D0: BE8600D0
	s_mov_b32 s38, -16                                         // 0000000029D4: BEA600D0
	s_mov_b32 s19, 0x20000                                     // 0000000029D8: BE9300FF 00020000
	s_mov_b32 s15, 0x20000                                     // 0000000029E0: BE8F00FF 00020000
	s_mov_b32 s11, 0x20000                                     // 0000000029E8: BE8B00FF 00020000
	s_mov_b32 s7, 0x20000                                      // 0000000029F0: BE8700FF 00020000
	s_mov_b32 s39, 0x20000                                     // 0000000029F8: BEA700FF 00020000
	s_and_b32 s17, s17, 0xffff                                 // 000000002A00: 8611FF11 0000FFFF
	s_and_b32 s13, s13, 0xffff                                 // 000000002A08: 860DFF0D 0000FFFF
	s_and_b32 s9, s9, 0xffff                                   // 000000002A10: 8609FF09 0000FFFF
	s_and_b32 s5, s5, 0xffff                                   // 000000002A18: 8605FF05 0000FFFF
	s_and_b32 s37, s37, 0xffff                                 // 000000002A20: 8625FF25 0000FFFF
	s_or_b32 s17, s17, 0x40000                                 // 000000002A28: 8711FF11 00040000
	s_or_b32 s13, s13, 0x40000                                 // 000000002A30: 870DFF0D 00040000
	s_or_b32 s9, s9, 0x40000                                   // 000000002A38: 8709FF09 00040000
	s_or_b32 s5, s5, 0x40000                                   // 000000002A40: 8705FF05 00040000
	s_or_b32 s37, s37, 0x40000                                 // 000000002A48: 8725FF25 00040000
	s_mov_b32 s35, 0x7060302                                   // 000000002A50: BEA300FF 07060302
	v_mov_b32_e32 v9, 0xffff0000                               // 000000002A58: 7E1202FF FFFF0000
	v_mov_b32_e32 v10, 0x7fff0000                              // 000000002A60: 7E1402FF 7FFF0000
	v_mov_b32_e32 v11, 0x7fff                                  // 000000002A68: 7E1602FF 00007FFF
	s_mul_i32 s31, s28, s25                                    // 000000002A70: 921F191C
	s_mov_b32 s6, s31                                          // 000000002A74: BE86001F
	s_mov_b32 s40, 0x80                                        // 000000002A78: BEA800FF 00000080
	v_lshrrev_b32_e32 v4, 5, v0                                // 000000002A80: 20080085
	v_lshlrev_b32_e32 v4, 2, v4                                // 000000002A84: 24080882
	v_mul_lo_u32 v19, v4, s28                                  // 000000002A88: D2850013 00003904
	v_and_b32_e32 v4, 31, v0                                   // 000000002A90: 2608009F
	v_lshlrev_b32_e32 v4, 2, v4                                // 000000002A94: 24080882
	v_add_u32_e32 v19, v19, v4                                 // 000000002A98: 68260913
	s_mul_i32 s31, 8, s28                                      // 000000002A9C: 921F1C88
	v_add_u32_e64 v20, v19, s31                                // 000000002AA0: D1340014 00003F13
	v_add_u32_e64 v21, v20, s31                                // 000000002AA8: D1340015 00003F14
	v_add_u32_e64 v22, v21, s31                                // 000000002AB0: D1340016 00003F15
	v_add_u32_e64 v23, v22, s31                                // 000000002AB8: D1340017 00003F16
	v_add_u32_e64 v24, v23, s31                                // 000000002AC0: D1340018 00003F17
	v_add_u32_e64 v25, v24, s31                                // 000000002AC8: D1340019 00003F18
	v_add_u32_e64 v26, v25, s31                                // 000000002AD0: D134001A 00003F19
	v_add_u32_e64 v27, v26, s31                                // 000000002AD8: D134001B 00003F1A
	v_add_u32_e64 v28, v27, s31                                // 000000002AE0: D134001C 00003F1B
	v_add_u32_e64 v29, v28, s31                                // 000000002AE8: D134001D 00003F1C
	v_add_u32_e64 v30, v29, s31                                // 000000002AF0: D134001E 00003F1D
	s_mul_i32 s31, s23, 0x60                                   // 000000002AF8: 921FFF17 00000060
	s_add_u32 s31, s31, s24                                    // 000000002B00: 801F181F
	s_mul_i32 s32, s31, s28                                    // 000000002B04: 92201C1F
	v_add_u32_e64 v19, v19, s32                                // 000000002B08: D1340013 00004113
	v_add_u32_e64 v20, v20, s32                                // 000000002B10: D1340014 00004114
	v_add_u32_e64 v21, v21, s32                                // 000000002B18: D1340015 00004115
	v_add_u32_e64 v22, v22, s32                                // 000000002B20: D1340016 00004116
	v_add_u32_e64 v23, v23, s32                                // 000000002B28: D1340017 00004117
	v_add_u32_e64 v24, v24, s32                                // 000000002B30: D1340018 00004118
	v_add_u32_e64 v25, v25, s32                                // 000000002B38: D1340019 00004119
	v_add_u32_e64 v26, v26, s32                                // 000000002B40: D134001A 0000411A
	v_add_u32_e64 v27, v27, s32                                // 000000002B48: D134001B 0000411B
	v_add_u32_e64 v28, v28, s32                                // 000000002B50: D134001C 0000411C
	v_add_u32_e64 v29, v29, s32                                // 000000002B58: D134001D 0000411D
	v_add_u32_e64 v30, v30, s32                                // 000000002B60: D134001E 0000411E
	v_lshrrev_b32_e32 v4, 4, v0                                // 000000002B68: 20080084
	v_lshlrev_b32_e32 v5, 2, v4                                // 000000002B6C: 240A0882
	v_and_b32_e32 v4, 15, v0                                   // 000000002B70: 2608008F
	v_lshrrev_b32_e32 v6, 2, v4                                // 000000002B74: 200C0882
	v_lshlrev_b32_e32 v6, 5, v6                                // 000000002B78: 240C0C85
	v_add_u32_e32 v5, v6, v5                                   // 000000002B7C: 680A0B06
	v_and_b32_e32 v4, 3, v0                                    // 000000002B80: 26080083
	v_mul_u32_u24_e32 v6, 0x308, v4                            // 000000002B84: 100C08FF 00000308
	v_add_u32_e32 v5, v6, v5                                   // 000000002B8C: 680A0B06
	v_lshlrev_b32_e32 v31, 2, v5                               // 000000002B90: 243E0A82
	s_mul_i32 s31, s24, 0xc20                                  // 000000002B94: 921FFF18 00000C20
	s_add_u32 s42, 0, s31                                      // 000000002B9C: 802A1F80
	s_add_u32 s43, 0x3080, s42                                 // 000000002BA0: 802B2AFF 00003080
	s_add_u32 s44, 0x3080, s43                                 // 000000002BA8: 802C2BFF 00003080
	s_mul_i32 s31, s29, s26                                    // 000000002BB0: 921F1A1D
	s_mov_b32 s10, s31                                         // 000000002BB4: BE8A001F
	s_mov_b32 s41, 0x800                                       // 000000002BB8: BEA900FF 00000800
	v_lshlrev_b32_e32 v32, 4, v0                               // 000000002BC0: 24400084
	s_mov_b32 s31, 0x400                                       // 000000002BC4: BE9F00FF 00000400
	v_add_u32_e64 v33, v32, s31                                // 000000002BCC: D1340021 00003F20
	s_mul_i32 s31, s22, 64                                     // 000000002BD4: 921FC016
	s_mul_i32 s32, 16, s24                                     // 000000002BD8: 92201890
	s_add_u32 s31, s31, s32                                    // 000000002BDC: 801F201F
	s_mul_i32 s32, s31, s29                                    // 000000002BE0: 92201D1F
	v_add_u32_e64 v32, v32, s32                                // 000000002BE4: D1340020 00004120
	v_add_u32_e64 v33, v33, s32                                // 000000002BEC: D1340021 00004121
	s_cmp_le_u32 s48, 1                                        // 000000002BF4: BF0B8130
	s_cbranch_scc1 label_0105                                  // 000000002BF8: BF850046
	s_lshr_b32 s32, s27, 6                                     // 000000002BFC: 8F20861B
	v_cvt_f32_u32_e32 v4, s48                                  // 000000002C00: 7E080C30
	s_sub_i32 s31, 0, s48                                      // 000000002C04: 819F3080
	v_rcp_iflag_f32_e32 v4, v4                                 // 000000002C08: 7E084704
	s_nop 0                                                    // 000000002C0C: BF800000
	v_mul_f32_e32 v4, 0x4f7ffffe, v4                           // 000000002C10: 0A0808FF 4F7FFFFE
	v_cvt_u32_f32_e32 v4, v4                                   // 000000002C18: 7E080F04
	v_mul_lo_u32 v5, s31, v4                                   // 000000002C1C: D2850005 0002081F
	v_mul_hi_u32 v5, v4, v5                                    // 000000002C24: D2860005 00020B04
	v_add_u32_e32 v4, v4, v5                                   // 000000002C2C: 68080B04
	v_mul_hi_u32 v4, s32, v4                                   // 000000002C30: D2860004 00020820
	v_mul_lo_u32 v5, v4, s48                                   // 000000002C38: D2850005 00006104
	v_sub_u32_e32 v7, s32, v5                                  // 000000002C40: 6A0E0A20
	v_add_u32_e32 v6, 1, v4                                    // 000000002C44: 680C0881
	v_cmp_le_u32_e32 vcc, s48, v7                              // 000000002C48: 7D960E30
	v_subrev_u32_e32 v5, s48, v7                               // 000000002C4C: 6C0A0E30
	s_nop 0                                                    // 000000002C50: BF800000
	v_cndmask_b32_e32 v4, v4, v6, vcc                          // 000000002C54: 00080D04
	v_cndmask_b32_e32 v7, v7, v5, vcc                          // 000000002C58: 000E0B07
	v_add_u32_e32 v5, 1, v4                                    // 000000002C5C: 680A0881
	v_cmp_le_u32_e32 vcc, s48, v7                              // 000000002C60: 7D960E30
	s_nop 1                                                    // 000000002C64: BF800001
	v_cndmask_b32_e32 v7, v4, v5, vcc                          // 000000002C68: 000E0B04
	s_nop 3                                                    // 000000002C6C: BF800003
	v_readfirstlane_b32 s32, v7                                // 000000002C70: 7E400507
	s_nop 3                                                    // 000000002C74: BF800003
	s_mul_i32 s32, s32, 64                                     // 000000002C78: 9220C020
	s_mul_i32 s31, s49, s32                                    // 000000002C7C: 921F2031
	s_sub_i32 s52, s27, s31                                    // 000000002C80: 81B41F1B
	s_sub_i32 s31, s48, 1                                      // 000000002C84: 819F8130
	s_cmp_eq_i32 s49, s31                                      // 000000002C88: BF001F31
	s_cselect_b32 s27, s52, s32                                // 000000002C8C: 851B2034
	s_mul_i32 s31, s32, 2                                      // 000000002C90: 921F8220
	s_mul_i32 s31, s31, s49                                    // 000000002C94: 921F311F
	v_add_u32_e64 v19, v19, s31                                // 000000002C98: D1340013 00003F13
	v_add_u32_e64 v20, v20, s31                                // 000000002CA0: D1340014 00003F14
	v_add_u32_e64 v21, v21, s31                                // 000000002CA8: D1340015 00003F15
	v_add_u32_e64 v22, v22, s31                                // 000000002CB0: D1340016 00003F16
	v_add_u32_e64 v23, v23, s31                                // 000000002CB8: D1340017 00003F17
	v_add_u32_e64 v24, v24, s31                                // 000000002CC0: D1340018 00003F18
	v_add_u32_e64 v25, v25, s31                                // 000000002CC8: D1340019 00003F19
	v_add_u32_e64 v26, v26, s31                                // 000000002CD0: D134001A 00003F1A
	v_add_u32_e64 v27, v27, s31                                // 000000002CD8: D134001B 00003F1B
	v_add_u32_e64 v28, v28, s31                                // 000000002CE0: D134001C 00003F1C
	v_add_u32_e64 v29, v29, s31                                // 000000002CE8: D134001D 00003F1D
	v_add_u32_e64 v30, v30, s31                                // 000000002CF0: D134001E 00003F1E
	s_mul_i32 s31, s32, 2                                      // 000000002CF8: 921F8220
	s_mul_i32 s31, s31, s49                                    // 000000002CFC: 921F311F
	s_mul_i32 s31, s31, 16                                     // 000000002D00: 921F901F
	v_add_u32_e64 v32, v32, s31                                // 000000002D04: D1340020 00003F20
	v_add_u32_e64 v33, v33, s31                                // 000000002D0C: D1340021 00003F21

0000000000002d14 <label_0105>:
	s_mul_i32 s31, s30, s25                                    // 000000002D14: 921F191E
	s_mov_b32 s18, s31                                         // 000000002D18: BE92001F
	s_cmp_lt_u32 s50, 1                                        // 000000002D1C: BF0A8132
	s_cbranch_scc0 label_0129                                  // 000000002D20: BF840020
	v_and_b32_e64 v12, v0, 15                                  // 000000002D24: D113000C 00011F00
	v_mul_lo_u32 v12, v12, s30                                 // 000000002D2C: D285000C 00003D0C
	v_lshrrev_b32_e32 v4, 4, v0                                // 000000002D34: 20080084
	v_mul_i32_i24_e32 v4, 16, v4                               // 000000002D38: 0C080890
	v_add_u32_e32 v12, v4, v12                                 // 000000002D3C: 68181904
	s_mul_i32 s31, s23, 0x60                                   // 000000002D40: 921FFF17 00000060
	s_mul_i32 s31, s31, s30                                    // 000000002D48: 921F1E1F
	v_add_u32_e32 v12, s31, v12                                // 000000002D4C: 6818181F
	s_mul_i32 s31, s22, 64                                     // 000000002D50: 921FC016
	s_mul_i32 s31, s31, 4                                      // 000000002D54: 921F841F
	v_add_u32_e32 v12, s31, v12                                // 000000002D58: 6818181F
	s_mul_i32 s31, 64, s24                                     // 000000002D5C: 921F18C0
	v_add_u32_e32 v12, s31, v12                                // 000000002D60: 6818181F
	s_mul_i32 s31, 16, s30                                     // 000000002D64: 921F1E90
	v_add_u32_e32 v13, s31, v12                                // 000000002D68: 681A181F
	v_add_u32_e32 v14, s31, v13                                // 000000002D6C: 681C1A1F
	v_add_u32_e32 v15, s31, v14                                // 000000002D70: 681E1C1F
	v_add_u32_e32 v16, s31, v15                                // 000000002D74: 68201E1F
	v_add_u32_e32 v17, s31, v16                                // 000000002D78: 6822201F
	s_mul_i32 s31, s23, 0x60                                   // 000000002D7C: 921FFF17 00000060
	s_add_i32 s31, s31, s24                                    // 000000002D84: 811F181F
	s_mul_i32 s31, s31, s30                                    // 000000002D88: 921F1E1F
	s_mul_i32 s32, s22, 64                                     // 000000002D8C: 9220C016
	s_mul_i32 s32, s32, 4                                      // 000000002D90: 92208420
	s_add_i32 s31, s31, s32                                    // 000000002D94: 811F201F
	v_lshlrev_b32_e32 v18, 2, v0                               // 000000002D98: 24240082
	v_add_u32_e32 v18, s31, v18                                // 000000002D9C: 6824241F
	s_branch label_014E                                        // 000000002DA0: BF820025

0000000000002da4 <label_0129>:
	v_and_b32_e64 v12, v0, 15                                  // 000000002DA4: D113000C 00011F00
	v_mul_lo_u32 v12, v12, s30                                 // 000000002DAC: D285000C 00003D0C
	v_lshrrev_b32_e32 v4, 4, v0                                // 000000002DB4: 20080084
	v_mul_i32_i24_e32 v4, 8, v4                                // 000000002DB8: 0C080888
	v_add_u32_e32 v12, v4, v12                                 // 000000002DBC: 68181904
	s_mul_i32 s31, s23, 0x60                                   // 000000002DC0: 921FFF17 00000060
	s_mul_i32 s31, s31, s30                                    // 000000002DC8: 921F1E1F
	v_add_u32_e32 v12, s31, v12                                // 000000002DCC: 6818181F
	s_mul_i32 s31, s22, 64                                     // 000000002DD0: 921FC016
	s_mul_i32 s31, s31, 2                                      // 000000002DD4: 921F821F
	v_add_u32_e32 v12, s31, v12                                // 000000002DD8: 6818181F
	s_mul_i32 s31, 32, s24                                     // 000000002DDC: 921F18A0
	v_add_u32_e32 v12, s31, v12                                // 000000002DE0: 6818181F
	s_mul_i32 s31, 16, s30                                     // 000000002DE4: 921F1E90
	v_add_u32_e32 v13, s31, v12                                // 000000002DE8: 681A181F
	v_add_u32_e32 v14, s31, v13                                // 000000002DEC: 681C1A1F
	v_add_u32_e32 v15, s31, v14                                // 000000002DF0: 681E1C1F
	v_add_u32_e32 v16, s31, v15                                // 000000002DF4: 68201E1F
	v_add_u32_e32 v17, s31, v16                                // 000000002DF8: 6822201F
	s_mul_i32 s31, s23, 0x60                                   // 000000002DFC: 921FFF17 00000060
	s_add_i32 s31, s31, s24                                    // 000000002E04: 811F181F
	s_mul_i32 s31, s31, s30                                    // 000000002E08: 921F1E1F
	s_mul_i32 s32, s22, 64                                     // 000000002E0C: 9220C016
	s_mul_i32 s32, s32, 2                                      // 000000002E10: 92208220
	s_add_i32 s31, s31, s32                                    // 000000002E14: 811F201F
	v_lshrrev_b32_e32 v4, 5, v0                                // 000000002E18: 20080085
	s_mul_i32 s32, s30, 4                                      // 000000002E1C: 9220841E
	v_mul_lo_u32 v4, v4, s32                                   // 000000002E20: D2850004 00004104
	v_and_b32_e32 v5, 31, v0                                   // 000000002E28: 260A009F
	v_lshlrev_b32_e32 v5, 2, v5                                // 000000002E2C: 240A0A82
	v_add_u32_e32 v18, v4, v5                                  // 000000002E30: 68240B04
	v_add_u32_e32 v18, s31, v18                                // 000000002E34: 6824241F

0000000000002e38 <label_014E>:
	s_cmp_eq_u32 s57, 1                                        // 000000002E38: BF068139
	s_cbranch_scc0 label_0189                                  // 000000002E3C: BF840039
	s_cmp_eq_i32 s49, 0                                        // 000000002E40: BF008031
	s_cbranch_scc0 label_0189                                  // 000000002E44: BF840037
	s_mul_i32 s31, 2, s26                                      // 000000002E48: 921F1A82
	s_mov_b32 s38, s31                                         // 000000002E4C: BEA6001F
	v_lshrrev_b32_e32 v4, 4, v0                                // 000000002E50: 20080084
	v_mul_i32_i24_e32 v72, 8, v4                               // 000000002E54: 0C900888
	s_mul_i32 s31, 32, s24                                     // 000000002E58: 921F18A0
	v_add_u32_e32 v72, s31, v72                                // 000000002E5C: 6890901F
	s_mul_i32 s32, s22, 64                                     // 000000002E60: 9220C016
	s_mul_i32 s32, s32, 2                                      // 000000002E64: 92208220
	v_add_u32_e32 v72, s32, v72                                // 000000002E68: 68909020
	v_mov_b32_e32 v74, 0                                       // 000000002E6C: 7E940280
	v_mov_b32_e32 v75, 0                                       // 000000002E70: 7E960280
	buffer_load_dwordx2 v[74:75], v72, s[36:39], 0 offen       // 000000002E74: E0541000 80094A48
	s_waitcnt vmcnt(0)                                         // 000000002E7C: BF8C0F70
	v_mov_b32_e32 v4, 0xffff0000                               // 000000002E80: 7E0802FF FFFF0000
	v_and_b32_e32 v4, v74, v4                                  // 000000002E88: 2608094A
	v_mov_b32_e32 v5, 0xffff                                   // 000000002E8C: 7E0A02FF 0000FFFF
	v_and_b32_e32 v5, v74, v5                                  // 000000002E94: 260A0B4A
	v_mov_b32_e32 v77, v4                                      // 000000002E98: 7E9A0304
	v_lshlrev_b32_e32 v76, 16, v5                              // 000000002E9C: 24980A90
	v_mov_b32_e32 v4, 0xffff0000                               // 000000002EA0: 7E0802FF FFFF0000
	v_and_b32_e32 v4, v75, v4                                  // 000000002EA8: 2608094B
	v_mov_b32_e32 v5, 0xffff                                   // 000000002EAC: 7E0A02FF 0000FFFF
	v_and_b32_e32 v5, v75, v5                                  // 000000002EB4: 260A0B4B
	v_mov_b32_e32 v79, v4                                      // 000000002EB8: 7E9E0304
	v_lshlrev_b32_e32 v78, 16, v5                              // 000000002EBC: 249C0A90
	v_mov_b32_e32 v36, v76                                     // 000000002EC0: 7E48034C
	v_mov_b32_e32 v37, v77                                     // 000000002EC4: 7E4A034D
	v_mov_b32_e32 v38, v78                                     // 000000002EC8: 7E4C034E
	v_mov_b32_e32 v39, v79                                     // 000000002ECC: 7E4E034F
	v_mov_b32_e32 v40, v76                                     // 000000002ED0: 7E50034C
	v_mov_b32_e32 v41, v77                                     // 000000002ED4: 7E52034D
	v_mov_b32_e32 v42, v78                                     // 000000002ED8: 7E54034E
	v_mov_b32_e32 v43, v79                                     // 000000002EDC: 7E56034F
	v_mov_b32_e32 v44, v76                                     // 000000002EE0: 7E58034C
	v_mov_b32_e32 v45, v77                                     // 000000002EE4: 7E5A034D
	v_mov_b32_e32 v46, v78                                     // 000000002EE8: 7E5C034E
	v_mov_b32_e32 v47, v79                                     // 000000002EEC: 7E5E034F
	v_mov_b32_e32 v48, v76                                     // 000000002EF0: 7E60034C
	v_mov_b32_e32 v49, v77                                     // 000000002EF4: 7E62034D
	v_mov_b32_e32 v50, v78                                     // 000000002EF8: 7E64034E
	v_mov_b32_e32 v51, v79                                     // 000000002EFC: 7E66034F
	v_mov_b32_e32 v52, v76                                     // 000000002F00: 7E68034C
	v_mov_b32_e32 v53, v77                                     // 000000002F04: 7E6A034D
	v_mov_b32_e32 v54, v78                                     // 000000002F08: 7E6C034E
	v_mov_b32_e32 v55, v79                                     // 000000002F0C: 7E6E034F
	v_mov_b32_e32 v56, v76                                     // 000000002F10: 7E70034C
	v_mov_b32_e32 v57, v77                                     // 000000002F14: 7E72034D
	v_mov_b32_e32 v58, v78                                     // 000000002F18: 7E74034E
	v_mov_b32_e32 v59, v79                                     // 000000002F1C: 7E76034F
	s_branch label_01A1                                        // 000000002F20: BF820018

0000000000002f24 <label_0189>:
	v_mov_b32_e32 v36, 0                                       // 000000002F24: 7E480280
	v_mov_b32_e32 v37, 0                                       // 000000002F28: 7E4A0280
	v_mov_b32_e32 v38, 0                                       // 000000002F2C: 7E4C0280
	v_mov_b32_e32 v39, 0                                       // 000000002F30: 7E4E0280
	v_mov_b32_e32 v40, 0                                       // 000000002F34: 7E500280
	v_mov_b32_e32 v41, 0                                       // 000000002F38: 7E520280
	v_mov_b32_e32 v42, 0                                       // 000000002F3C: 7E540280
	v_mov_b32_e32 v43, 0                                       // 000000002F40: 7E560280
	v_mov_b32_e32 v44, 0                                       // 000000002F44: 7E580280
	v_mov_b32_e32 v45, 0                                       // 000000002F48: 7E5A0280
	v_mov_b32_e32 v46, 0                                       // 000000002F4C: 7E5C0280
	v_mov_b32_e32 v47, 0                                       // 000000002F50: 7E5E0280
	v_mov_b32_e32 v48, 0                                       // 000000002F54: 7E600280
	v_mov_b32_e32 v49, 0                                       // 000000002F58: 7E620280
	v_mov_b32_e32 v50, 0                                       // 000000002F5C: 7E640280
	v_mov_b32_e32 v51, 0                                       // 000000002F60: 7E660280
	v_mov_b32_e32 v52, 0                                       // 000000002F64: 7E680280
	v_mov_b32_e32 v53, 0                                       // 000000002F68: 7E6A0280
	v_mov_b32_e32 v54, 0                                       // 000000002F6C: 7E6C0280
	v_mov_b32_e32 v55, 0                                       // 000000002F70: 7E6E0280
	v_mov_b32_e32 v56, 0                                       // 000000002F74: 7E700280
	v_mov_b32_e32 v57, 0                                       // 000000002F78: 7E720280
	v_mov_b32_e32 v58, 0                                       // 000000002F7C: 7E740280
	v_mov_b32_e32 v59, 0                                       // 000000002F80: 7E760280

0000000000002f84 <label_01A1>:
	s_add_u32 m0, 0, s42                                       // 000000002F84: 807C2A80
	buffer_load_dword v19, s[4:7], 0 offen lds                 // 000000002F88: E0511000 80010013
	s_add_u32 m0, 0x100, s42                                   // 000000002F90: 807C2AFF 00000100
	buffer_load_dword v20, s[4:7], 0 offen lds                 // 000000002F98: E0511000 80010014
	s_add_u32 m0, 0x200, s42                                   // 000000002FA0: 807C2AFF 00000200
	buffer_load_dword v21, s[4:7], 0 offen lds                 // 000000002FA8: E0511000 80010015
	s_add_u32 m0, 0x300, s42                                   // 000000002FB0: 807C2AFF 00000300
	buffer_load_dword v22, s[4:7], 0 offen lds                 // 000000002FB8: E0511000 80010016
	s_add_u32 m0, 0x400, s42                                   // 000000002FC0: 807C2AFF 00000400
	buffer_load_dword v23, s[4:7], 0 offen lds                 // 000000002FC8: E0511000 80010017
	s_add_u32 m0, 0x500, s42                                   // 000000002FD0: 807C2AFF 00000500
	buffer_load_dword v24, s[4:7], 0 offen lds                 // 000000002FD8: E0511000 80010018
	s_add_u32 m0, 0x600, s42                                   // 000000002FE0: 807C2AFF 00000600
	buffer_load_dword v25, s[4:7], 0 offen lds                 // 000000002FE8: E0511000 80010019
	s_add_u32 m0, 0x700, s42                                   // 000000002FF0: 807C2AFF 00000700
	buffer_load_dword v26, s[4:7], 0 offen lds                 // 000000002FF8: E0511000 8001001A
	s_add_u32 m0, 0x800, s42                                   // 000000003000: 807C2AFF 00000800
	buffer_load_dword v27, s[4:7], 0 offen lds                 // 000000003008: E0511000 8001001B
	s_add_u32 m0, 0x900, s42                                   // 000000003010: 807C2AFF 00000900
	buffer_load_dword v28, s[4:7], 0 offen lds                 // 000000003018: E0511000 8001001C
	s_add_u32 m0, 0xa00, s42                                   // 000000003020: 807C2AFF 00000A00
	buffer_load_dword v29, s[4:7], 0 offen lds                 // 000000003028: E0511000 8001001D
	s_add_u32 m0, 0xb00, s42                                   // 000000003030: 807C2AFF 00000B00
	buffer_load_dword v30, s[4:7], 0 offen lds                 // 000000003038: E0511000 8001001E
	s_add_u32 s4, s40, s4                                      // 000000003040: 80040428
	s_addc_u32 s5, 0, s5                                       // 000000003044: 82050580
	s_sub_u32 s6, s6, s40                                      // 000000003048: 80862806
	buffer_load_dwordx4 a[96:99], v32, s[8:11], 0 offen        // 00000000304C: E05C1000 80826020
	buffer_load_dwordx4 a[100:103], v33, s[8:11], 0 offen      // 000000003054: E05C1000 80826421
	s_add_u32 s8, s41, s8                                      // 00000000305C: 80080829
	s_addc_u32 s9, 0, s9                                       // 000000003060: 82090980
	s_sub_u32 s10, s10, s41                                    // 000000003064: 808A290A
	s_add_u32 m0, 0, s43                                       // 000000003068: 807C2B80
	buffer_load_dword v19, s[4:7], 0 offen lds                 // 00000000306C: E0511000 80010013
	s_add_u32 m0, 0x100, s43                                   // 000000003074: 807C2BFF 00000100
	buffer_load_dword v20, s[4:7], 0 offen lds                 // 00000000307C: E0511000 80010014
	s_add_u32 m0, 0x200, s43                                   // 000000003084: 807C2BFF 00000200
	buffer_load_dword v21, s[4:7], 0 offen lds                 // 00000000308C: E0511000 80010015
	s_add_u32 m0, 0x300, s43                                   // 000000003094: 807C2BFF 00000300
	buffer_load_dword v22, s[4:7], 0 offen lds                 // 00000000309C: E0511000 80010016
	s_add_u32 m0, 0x400, s43                                   // 0000000030A4: 807C2BFF 00000400
	buffer_load_dword v23, s[4:7], 0 offen lds                 // 0000000030AC: E0511000 80010017
	s_add_u32 m0, 0x500, s43                                   // 0000000030B4: 807C2BFF 00000500
	buffer_load_dword v24, s[4:7], 0 offen lds                 // 0000000030BC: E0511000 80010018
	s_add_u32 m0, 0x600, s43                                   // 0000000030C4: 807C2BFF 00000600
	buffer_load_dword v25, s[4:7], 0 offen lds                 // 0000000030CC: E0511000 80010019
	s_add_u32 m0, 0x700, s43                                   // 0000000030D4: 807C2BFF 00000700
	buffer_load_dword v26, s[4:7], 0 offen lds                 // 0000000030DC: E0511000 8001001A
	s_add_u32 m0, 0x800, s43                                   // 0000000030E4: 807C2BFF 00000800
	buffer_load_dword v27, s[4:7], 0 offen lds                 // 0000000030EC: E0511000 8001001B
	s_add_u32 m0, 0x900, s43                                   // 0000000030F4: 807C2BFF 00000900
	buffer_load_dword v28, s[4:7], 0 offen lds                 // 0000000030FC: E0511000 8001001C
	s_add_u32 m0, 0xa00, s43                                   // 000000003104: 807C2BFF 00000A00
	buffer_load_dword v29, s[4:7], 0 offen lds                 // 00000000310C: E0511000 8001001D
	s_add_u32 m0, 0xb00, s43                                   // 000000003114: 807C2BFF 00000B00
	buffer_load_dword v30, s[4:7], 0 offen lds                 // 00000000311C: E0511000 8001001E
	s_add_u32 s4, s40, s4                                      // 000000003124: 80040428
	s_addc_u32 s5, 0, s5                                       // 000000003128: 82050580
	s_sub_u32 s6, s6, s40                                      // 00000000312C: 80862806
	buffer_load_dwordx4 a[104:107], v32, s[8:11], 0 offen      // 000000003130: E05C1000 80826820
	buffer_load_dwordx4 a[108:111], v33, s[8:11], 0 offen      // 000000003138: E05C1000 80826C21
	s_add_u32 s8, s41, s8                                      // 000000003140: 80080829
	s_addc_u32 s9, 0, s9                                       // 000000003144: 82090980
	s_sub_u32 s10, s10, s41                                    // 000000003148: 808A290A
	s_add_u32 m0, 0, s44                                       // 00000000314C: 807C2C80
	buffer_load_dword v19, s[4:7], 0 offen lds                 // 000000003150: E0511000 80010013
	s_add_u32 m0, 0x100, s44                                   // 000000003158: 807C2CFF 00000100
	buffer_load_dword v20, s[4:7], 0 offen lds                 // 000000003160: E0511000 80010014
	s_add_u32 m0, 0x200, s44                                   // 000000003168: 807C2CFF 00000200
	;; [unrolled: 2-line block ×5, first 2 shown]
	buffer_load_dword v24, s[4:7], 0 offen lds                 // 0000000031A0: E0511000 80010018
	s_add_u32 m0, 0x600, s44                                   // 0000000031A8: 807C2CFF 00000600
	buffer_load_dword v25, s[4:7], 0 offen lds                 // 0000000031B0: E0511000 80010019
	s_add_u32 m0, 0x700, s44                                   // 0000000031B8: 807C2CFF 00000700
	buffer_load_dword v26, s[4:7], 0 offen lds                 // 0000000031C0: E0511000 8001001A
	s_add_u32 m0, 0x800, s44                                   // 0000000031C8: 807C2CFF 00000800
	buffer_load_dword v27, s[4:7], 0 offen lds                 // 0000000031D0: E0511000 8001001B
	s_add_u32 m0, 0x900, s44                                   // 0000000031D8: 807C2CFF 00000900
	buffer_load_dword v28, s[4:7], 0 offen lds                 // 0000000031E0: E0511000 8001001C
	s_add_u32 m0, 0xa00, s44                                   // 0000000031E8: 807C2CFF 00000A00
	buffer_load_dword v29, s[4:7], 0 offen lds                 // 0000000031F0: E0511000 8001001D
	s_add_u32 m0, 0xb00, s44                                   // 0000000031F8: 807C2CFF 00000B00
	buffer_load_dword v30, s[4:7], 0 offen lds                 // 000000003200: E0511000 8001001E
	s_add_u32 s4, s40, s4                                      // 000000003208: 80040428
	s_addc_u32 s5, 0, s5                                       // 00000000320C: 82050580
	s_sub_u32 s6, s6, s40                                      // 000000003210: 80862806
	s_mov_b32 s34, s27                                         // 000000003214: BEA2001B
	s_mov_b32 s33, 0                                           // 000000003218: BEA10080
	s_mul_i32 s31, s23, 0x60                                   // 00000000321C: 921FFF17 00000060
	s_sub_i32 s51, s25, s31                                    // 000000003224: 81B31F19
	s_waitcnt vmcnt(28)                                        // 000000003228: BF8C4F7C
	s_barrier                                                  // 00000000322C: BF8A0000
	ds_read_b128 a[0:3], v31                                   // 000000003230: DBFE0000 0000001F
	ds_read_b128 a[4:7], v31 offset:64                         // 000000003238: DBFE0040 0400001F
	ds_read_b128 a[8:11], v31 offset:512                       // 000000003240: DBFE0200 0800001F
	ds_read_b128 a[12:15], v31 offset:576                      // 000000003248: DBFE0240 0C00001F
	ds_read_b128 a[16:19], v31 offset:1024                     // 000000003250: DBFE0400 1000001F
	ds_read_b128 a[20:23], v31 offset:1088                     // 000000003258: DBFE0440 1400001F
	ds_read_b128 a[24:27], v31 offset:1536                     // 000000003260: DBFE0600 1800001F
	ds_read_b128 a[28:31], v31 offset:1600                     // 000000003268: DBFE0640 1C00001F
	ds_read_b128 a[32:35], v31 offset:2048                     // 000000003270: DBFE0800 2000001F
	ds_read_b128 a[36:39], v31 offset:2112                     // 000000003278: DBFE0840 2400001F
	ds_read_b128 a[40:43], v31 offset:2560                     // 000000003280: DBFE0A00 2800001F
	ds_read_b128 a[44:47], v31 offset:2624                     // 000000003288: DBFE0A40 2C00001F
	s_cmp_lt_i32 s24, 2                                        // 000000003290: BF048218
	s_cbranch_scc0 label_05AF                                  // 000000003294: BF840349

0000000000003298 <label_0266>:
	s_waitcnt vmcnt(14) lgkmcnt(0)                             // 000000003298: BF8C007E
	s_barrier                                                  // 00000000329C: BF8A0000
	v_mfma_f32_16x16x16_bf16 v[36:39], a[96:97], a[0:1], v[36:39]// 0000000032A0: D3E10024 1C920160
	s_add_u32 m0, 0, s42                                       // 0000000032A8: 807C2A80
	buffer_load_dword v19, s[4:7], 0 offen lds                 // 0000000032AC: E0511000 80010013
	v_mfma_f32_16x16x16_bf16 v[36:39], a[98:99], a[2:3], v[36:39]// 0000000032B4: D3E10024 1C920562
	s_add_u32 m0, 0x100, s42                                   // 0000000032BC: 807C2AFF 00000100
	buffer_load_dword v20, s[4:7], 0 offen lds                 // 0000000032C4: E0511000 80010014
	ds_read_b128 a[48:51], v31 offset:12416                    // 0000000032CC: DBFE3080 3000001F
	ds_read_b128 a[52:55], v31 offset:12480                    // 0000000032D4: DBFE30C0 3400001F
	v_mfma_f32_16x16x16_bf16 v[36:39], a[100:101], a[4:5], v[36:39]// 0000000032DC: D3E10024 1C920964
	s_add_u32 m0, 0x200, s42                                   // 0000000032E4: 807C2AFF 00000200
	buffer_load_dword v21, s[4:7], 0 offen lds                 // 0000000032EC: E0511000 80010015
	v_mfma_f32_16x16x16_bf16 v[36:39], a[102:103], a[6:7], v[36:39]// 0000000032F4: D3E10024 1C920D66
	s_add_u32 m0, 0x300, s42                                   // 0000000032FC: 807C2AFF 00000300
	buffer_load_dword v22, s[4:7], 0 offen lds                 // 000000003304: E0511000 80010016
	ds_read_b128 a[56:59], v31 offset:12928                    // 00000000330C: DBFE3280 3800001F
	ds_read_b128 a[60:63], v31 offset:12992                    // 000000003314: DBFE32C0 3C00001F
	v_mfma_f32_16x16x16_bf16 v[40:43], a[96:97], a[8:9], v[40:43]// 00000000331C: D3E10028 1CA21160
	s_add_u32 m0, 0x400, s42                                   // 000000003324: 807C2AFF 00000400
	buffer_load_dword v23, s[4:7], 0 offen lds                 // 00000000332C: E0511000 80010017
	v_mfma_f32_16x16x16_bf16 v[40:43], a[98:99], a[10:11], v[40:43]// 000000003334: D3E10028 1CA21562
	s_add_u32 m0, 0x500, s42                                   // 00000000333C: 807C2AFF 00000500
	buffer_load_dword v24, s[4:7], 0 offen lds                 // 000000003344: E0511000 80010018
	ds_read_b128 a[64:67], v31 offset:13440                    // 00000000334C: DBFE3480 4000001F
	ds_read_b128 a[68:71], v31 offset:13504                    // 000000003354: DBFE34C0 4400001F
	v_mfma_f32_16x16x16_bf16 v[40:43], a[100:101], a[12:13], v[40:43]// 00000000335C: D3E10028 1CA21964
	s_add_u32 m0, 0x600, s42                                   // 000000003364: 807C2AFF 00000600
	buffer_load_dword v25, s[4:7], 0 offen lds                 // 00000000336C: E0511000 80010019
	v_mfma_f32_16x16x16_bf16 v[40:43], a[102:103], a[14:15], v[40:43]// 000000003374: D3E10028 1CA21D66
	s_add_u32 m0, 0x700, s42                                   // 00000000337C: 807C2AFF 00000700
	buffer_load_dword v26, s[4:7], 0 offen lds                 // 000000003384: E0511000 8001001A
	ds_read_b128 a[72:75], v31 offset:13952                    // 00000000338C: DBFE3680 4800001F
	ds_read_b128 a[76:79], v31 offset:14016                    // 000000003394: DBFE36C0 4C00001F
	v_mfma_f32_16x16x16_bf16 v[44:47], a[96:97], a[16:17], v[44:47]// 00000000339C: D3E1002C 1CB22160
	s_add_u32 m0, 0x800, s42                                   // 0000000033A4: 807C2AFF 00000800
	buffer_load_dword v27, s[4:7], 0 offen lds                 // 0000000033AC: E0511000 8001001B
	v_mfma_f32_16x16x16_bf16 v[44:47], a[98:99], a[18:19], v[44:47]// 0000000033B4: D3E1002C 1CB22562
	s_add_u32 m0, 0x900, s42                                   // 0000000033BC: 807C2AFF 00000900
	buffer_load_dword v28, s[4:7], 0 offen lds                 // 0000000033C4: E0511000 8001001C
	ds_read_b128 a[80:83], v31 offset:14464                    // 0000000033CC: DBFE3880 5000001F
	ds_read_b128 a[84:87], v31 offset:14528                    // 0000000033D4: DBFE38C0 5400001F
	v_mfma_f32_16x16x16_bf16 v[44:47], a[100:101], a[20:21], v[44:47]// 0000000033DC: D3E1002C 1CB22964
	s_add_u32 m0, 0xa00, s42                                   // 0000000033E4: 807C2AFF 00000A00
	buffer_load_dword v29, s[4:7], 0 offen lds                 // 0000000033EC: E0511000 8001001D
	v_mfma_f32_16x16x16_bf16 v[44:47], a[102:103], a[22:23], v[44:47]// 0000000033F4: D3E1002C 1CB22D66
	s_add_u32 m0, 0xb00, s42                                   // 0000000033FC: 807C2AFF 00000B00
	buffer_load_dword v30, s[4:7], 0 offen lds                 // 000000003404: E0511000 8001001E
	ds_read_b128 a[88:91], v31 offset:14976                    // 00000000340C: DBFE3A80 5800001F
	ds_read_b128 a[92:95], v31 offset:15040                    // 000000003414: DBFE3AC0 5C00001F
	v_mfma_f32_16x16x16_bf16 v[48:51], a[96:97], a[24:25], v[48:51]// 00000000341C: D3E10030 1CC23160
	s_add_u32 s31, 0x100, s33                                  // 000000003424: 801F21FF 00000100
	s_cmp_lt_u32 s31, s34                                      // 00000000342C: BF0A221F
	s_cselect_b32 s40, s40, 0                                  // 000000003430: 85288028
	buffer_load_dwordx4 a[112:115], v32, s[8:11], 0 offen      // 000000003434: E05C1000 80827020
	v_mfma_f32_16x16x16_bf16 v[48:51], a[98:99], a[26:27], v[48:51]// 00000000343C: D3E10030 1CC23562
	buffer_load_dwordx4 a[116:119], v33, s[8:11], 0 offen      // 000000003444: E05C1000 80827421
	s_add_u32 s4, s40, s4                                      // 00000000344C: 80040428
	s_addc_u32 s5, 0, s5                                       // 000000003450: 82050580
	v_mfma_f32_16x16x16_bf16 v[48:51], a[100:101], a[28:29], v[48:51]// 000000003454: D3E10030 1CC23964
	s_add_u32 s31, 0xc0, s33                                   // 00000000345C: 801F21FF 000000C0
	s_cmp_lt_u32 s31, s34                                      // 000000003464: BF0A221F
	s_cselect_b32 s41, s41, 0                                  // 000000003468: 85298029
	v_mfma_f32_16x16x16_bf16 v[48:51], a[102:103], a[30:31], v[48:51]// 00000000346C: D3E10030 1CC23D66
	s_add_u32 s8, s41, s8                                      // 000000003474: 80080829
	s_addc_u32 s9, 0, s9                                       // 000000003478: 82090980
	v_mfma_f32_16x16x16_bf16 v[52:55], a[96:97], a[32:33], v[52:55]// 00000000347C: D3E10034 1CD24160
	v_mfma_f32_16x16x16_bf16 v[52:55], a[98:99], a[34:35], v[52:55]// 000000003484: D3E10034 1CD24562
	v_mfma_f32_16x16x16_bf16 v[52:55], a[100:101], a[36:37], v[52:55]// 00000000348C: D3E10034 1CD24964
	v_mfma_f32_16x16x16_bf16 v[52:55], a[102:103], a[38:39], v[52:55]// 000000003494: D3E10034 1CD24D66
	v_mfma_f32_16x16x16_bf16 v[56:59], a[96:97], a[40:41], v[56:59]// 00000000349C: D3E10038 1CE25160
	v_mfma_f32_16x16x16_bf16 v[56:59], a[98:99], a[42:43], v[56:59]// 0000000034A4: D3E10038 1CE25562
	v_mfma_f32_16x16x16_bf16 v[56:59], a[100:101], a[44:45], v[56:59]// 0000000034AC: D3E10038 1CE25964
	v_mfma_f32_16x16x16_bf16 v[56:59], a[102:103], a[46:47], v[56:59]// 0000000034B4: D3E10038 1CE25D66
	s_addk_i32 s33, 0x40                                       // 0000000034BC: B7210040
	s_cmp_lt_i32 s33, s34                                      // 0000000034C0: BF042221
	s_cbranch_scc0 label_08F8                                  // 0000000034C4: BF840606
	s_waitcnt vmcnt(14) lgkmcnt(0)                             // 0000000034C8: BF8C007E
	s_barrier                                                  // 0000000034CC: BF8A0000
	v_mfma_f32_16x16x16_bf16 v[36:39], a[104:105], a[48:49], v[36:39]// 0000000034D0: D3E10024 1C926168
	s_add_u32 m0, 0, s43                                       // 0000000034D8: 807C2B80
	buffer_load_dword v19, s[4:7], 0 offen lds                 // 0000000034DC: E0511000 80010013
	v_mfma_f32_16x16x16_bf16 v[36:39], a[106:107], a[50:51], v[36:39]// 0000000034E4: D3E10024 1C92656A
	s_add_u32 m0, 0x100, s43                                   // 0000000034EC: 807C2BFF 00000100
	buffer_load_dword v20, s[4:7], 0 offen lds                 // 0000000034F4: E0511000 80010014
	ds_read_b128 a[0:3], v31 offset:24832                      // 0000000034FC: DBFE6100 0000001F
	ds_read_b128 a[4:7], v31 offset:24896                      // 000000003504: DBFE6140 0400001F
	v_mfma_f32_16x16x16_bf16 v[36:39], a[108:109], a[52:53], v[36:39]// 00000000350C: D3E10024 1C92696C
	s_add_u32 m0, 0x200, s43                                   // 000000003514: 807C2BFF 00000200
	buffer_load_dword v21, s[4:7], 0 offen lds                 // 00000000351C: E0511000 80010015
	v_mfma_f32_16x16x16_bf16 v[36:39], a[110:111], a[54:55], v[36:39]// 000000003524: D3E10024 1C926D6E
	s_add_u32 m0, 0x300, s43                                   // 00000000352C: 807C2BFF 00000300
	buffer_load_dword v22, s[4:7], 0 offen lds                 // 000000003534: E0511000 80010016
	ds_read_b128 a[8:11], v31 offset:25344                     // 00000000353C: DBFE6300 0800001F
	ds_read_b128 a[12:15], v31 offset:25408                    // 000000003544: DBFE6340 0C00001F
	v_mfma_f32_16x16x16_bf16 v[40:43], a[104:105], a[56:57], v[40:43]// 00000000354C: D3E10028 1CA27168
	s_add_u32 m0, 0x400, s43                                   // 000000003554: 807C2BFF 00000400
	buffer_load_dword v23, s[4:7], 0 offen lds                 // 00000000355C: E0511000 80010017
	v_mfma_f32_16x16x16_bf16 v[40:43], a[106:107], a[58:59], v[40:43]// 000000003564: D3E10028 1CA2756A
	s_add_u32 m0, 0x500, s43                                   // 00000000356C: 807C2BFF 00000500
	buffer_load_dword v24, s[4:7], 0 offen lds                 // 000000003574: E0511000 80010018
	ds_read_b128 a[16:19], v31 offset:25856                    // 00000000357C: DBFE6500 1000001F
	ds_read_b128 a[20:23], v31 offset:25920                    // 000000003584: DBFE6540 1400001F
	v_mfma_f32_16x16x16_bf16 v[40:43], a[108:109], a[60:61], v[40:43]// 00000000358C: D3E10028 1CA2796C
	s_add_u32 m0, 0x600, s43                                   // 000000003594: 807C2BFF 00000600
	buffer_load_dword v25, s[4:7], 0 offen lds                 // 00000000359C: E0511000 80010019
	v_mfma_f32_16x16x16_bf16 v[40:43], a[110:111], a[62:63], v[40:43]// 0000000035A4: D3E10028 1CA27D6E
	s_add_u32 m0, 0x700, s43                                   // 0000000035AC: 807C2BFF 00000700
	buffer_load_dword v26, s[4:7], 0 offen lds                 // 0000000035B4: E0511000 8001001A
	ds_read_b128 a[24:27], v31 offset:26368                    // 0000000035BC: DBFE6700 1800001F
	ds_read_b128 a[28:31], v31 offset:26432                    // 0000000035C4: DBFE6740 1C00001F
	v_mfma_f32_16x16x16_bf16 v[44:47], a[104:105], a[64:65], v[44:47]// 0000000035CC: D3E1002C 1CB28168
	s_add_u32 m0, 0x800, s43                                   // 0000000035D4: 807C2BFF 00000800
	buffer_load_dword v27, s[4:7], 0 offen lds                 // 0000000035DC: E0511000 8001001B
	v_mfma_f32_16x16x16_bf16 v[44:47], a[106:107], a[66:67], v[44:47]// 0000000035E4: D3E1002C 1CB2856A
	s_add_u32 m0, 0x900, s43                                   // 0000000035EC: 807C2BFF 00000900
	buffer_load_dword v28, s[4:7], 0 offen lds                 // 0000000035F4: E0511000 8001001C
	ds_read_b128 a[32:35], v31 offset:26880                    // 0000000035FC: DBFE6900 2000001F
	ds_read_b128 a[36:39], v31 offset:26944                    // 000000003604: DBFE6940 2400001F
	v_mfma_f32_16x16x16_bf16 v[44:47], a[108:109], a[68:69], v[44:47]// 00000000360C: D3E1002C 1CB2896C
	s_add_u32 m0, 0xa00, s43                                   // 000000003614: 807C2BFF 00000A00
	buffer_load_dword v29, s[4:7], 0 offen lds                 // 00000000361C: E0511000 8001001D
	v_mfma_f32_16x16x16_bf16 v[44:47], a[110:111], a[70:71], v[44:47]// 000000003624: D3E1002C 1CB28D6E
	s_add_u32 m0, 0xb00, s43                                   // 00000000362C: 807C2BFF 00000B00
	buffer_load_dword v30, s[4:7], 0 offen lds                 // 000000003634: E0511000 8001001E
	ds_read_b128 a[40:43], v31 offset:27392                    // 00000000363C: DBFE6B00 2800001F
	ds_read_b128 a[44:47], v31 offset:27456                    // 000000003644: DBFE6B40 2C00001F
	v_mfma_f32_16x16x16_bf16 v[48:51], a[104:105], a[72:73], v[48:51]// 00000000364C: D3E10030 1CC29168
	s_add_u32 s31, 0x100, s33                                  // 000000003654: 801F21FF 00000100
	s_cmp_lt_u32 s31, s34                                      // 00000000365C: BF0A221F
	s_cselect_b32 s40, s40, 0                                  // 000000003660: 85288028
	buffer_load_dwordx4 a[96:99], v32, s[8:11], 0 offen        // 000000003664: E05C1000 80826020
	v_mfma_f32_16x16x16_bf16 v[48:51], a[106:107], a[74:75], v[48:51]// 00000000366C: D3E10030 1CC2956A
	buffer_load_dwordx4 a[100:103], v33, s[8:11], 0 offen      // 000000003674: E05C1000 80826421
	s_add_u32 s4, s40, s4                                      // 00000000367C: 80040428
	s_addc_u32 s5, 0, s5                                       // 000000003680: 82050580
	v_mfma_f32_16x16x16_bf16 v[48:51], a[108:109], a[76:77], v[48:51]// 000000003684: D3E10030 1CC2996C
	s_add_u32 s31, 0xc0, s33                                   // 00000000368C: 801F21FF 000000C0
	s_cmp_lt_u32 s31, s34                                      // 000000003694: BF0A221F
	s_cselect_b32 s41, s41, 0                                  // 000000003698: 85298029
	v_mfma_f32_16x16x16_bf16 v[48:51], a[110:111], a[78:79], v[48:51]// 00000000369C: D3E10030 1CC29D6E
	s_add_u32 s8, s41, s8                                      // 0000000036A4: 80080829
	s_addc_u32 s9, 0, s9                                       // 0000000036A8: 82090980
	v_mfma_f32_16x16x16_bf16 v[52:55], a[104:105], a[80:81], v[52:55]// 0000000036AC: D3E10034 1CD2A168
	v_mfma_f32_16x16x16_bf16 v[52:55], a[106:107], a[82:83], v[52:55]// 0000000036B4: D3E10034 1CD2A56A
	v_mfma_f32_16x16x16_bf16 v[52:55], a[108:109], a[84:85], v[52:55]// 0000000036BC: D3E10034 1CD2A96C
	v_mfma_f32_16x16x16_bf16 v[52:55], a[110:111], a[86:87], v[52:55]// 0000000036C4: D3E10034 1CD2AD6E
	v_mfma_f32_16x16x16_bf16 v[56:59], a[104:105], a[88:89], v[56:59]// 0000000036CC: D3E10038 1CE2B168
	v_mfma_f32_16x16x16_bf16 v[56:59], a[106:107], a[90:91], v[56:59]// 0000000036D4: D3E10038 1CE2B56A
	v_mfma_f32_16x16x16_bf16 v[56:59], a[108:109], a[92:93], v[56:59]// 0000000036DC: D3E10038 1CE2B96C
	v_mfma_f32_16x16x16_bf16 v[56:59], a[110:111], a[94:95], v[56:59]// 0000000036E4: D3E10038 1CE2BD6E
	s_addk_i32 s33, 0x40                                       // 0000000036EC: B7210040
	s_cmp_lt_i32 s33, s34                                      // 0000000036F0: BF042221
	s_cbranch_scc0 label_08F8                                  // 0000000036F4: BF84057A
	s_waitcnt vmcnt(14) lgkmcnt(0)                             // 0000000036F8: BF8C007E
	s_barrier                                                  // 0000000036FC: BF8A0000
	v_mfma_f32_16x16x16_bf16 v[36:39], a[112:113], a[0:1], v[36:39]// 000000003700: D3E10024 1C920170
	s_add_u32 m0, 0, s44                                       // 000000003708: 807C2C80
	buffer_load_dword v19, s[4:7], 0 offen lds                 // 00000000370C: E0511000 80010013
	v_mfma_f32_16x16x16_bf16 v[36:39], a[114:115], a[2:3], v[36:39]// 000000003714: D3E10024 1C920572
	s_add_u32 m0, 0x100, s44                                   // 00000000371C: 807C2CFF 00000100
	buffer_load_dword v20, s[4:7], 0 offen lds                 // 000000003724: E0511000 80010014
	ds_read_b128 a[48:51], v31                                 // 00000000372C: DBFE0000 3000001F
	ds_read_b128 a[52:55], v31 offset:64                       // 000000003734: DBFE0040 3400001F
	v_mfma_f32_16x16x16_bf16 v[36:39], a[116:117], a[4:5], v[36:39]// 00000000373C: D3E10024 1C920974
	s_add_u32 m0, 0x200, s44                                   // 000000003744: 807C2CFF 00000200
	buffer_load_dword v21, s[4:7], 0 offen lds                 // 00000000374C: E0511000 80010015
	v_mfma_f32_16x16x16_bf16 v[36:39], a[118:119], a[6:7], v[36:39]// 000000003754: D3E10024 1C920D76
	s_add_u32 m0, 0x300, s44                                   // 00000000375C: 807C2CFF 00000300
	buffer_load_dword v22, s[4:7], 0 offen lds                 // 000000003764: E0511000 80010016
	ds_read_b128 a[56:59], v31 offset:512                      // 00000000376C: DBFE0200 3800001F
	ds_read_b128 a[60:63], v31 offset:576                      // 000000003774: DBFE0240 3C00001F
	v_mfma_f32_16x16x16_bf16 v[40:43], a[112:113], a[8:9], v[40:43]// 00000000377C: D3E10028 1CA21170
	s_add_u32 m0, 0x400, s44                                   // 000000003784: 807C2CFF 00000400
	buffer_load_dword v23, s[4:7], 0 offen lds                 // 00000000378C: E0511000 80010017
	v_mfma_f32_16x16x16_bf16 v[40:43], a[114:115], a[10:11], v[40:43]// 000000003794: D3E10028 1CA21572
	s_add_u32 m0, 0x500, s44                                   // 00000000379C: 807C2CFF 00000500
	buffer_load_dword v24, s[4:7], 0 offen lds                 // 0000000037A4: E0511000 80010018
	ds_read_b128 a[64:67], v31 offset:1024                     // 0000000037AC: DBFE0400 4000001F
	ds_read_b128 a[68:71], v31 offset:1088                     // 0000000037B4: DBFE0440 4400001F
	v_mfma_f32_16x16x16_bf16 v[40:43], a[116:117], a[12:13], v[40:43]// 0000000037BC: D3E10028 1CA21974
	s_add_u32 m0, 0x600, s44                                   // 0000000037C4: 807C2CFF 00000600
	buffer_load_dword v25, s[4:7], 0 offen lds                 // 0000000037CC: E0511000 80010019
	v_mfma_f32_16x16x16_bf16 v[40:43], a[118:119], a[14:15], v[40:43]// 0000000037D4: D3E10028 1CA21D76
	s_add_u32 m0, 0x700, s44                                   // 0000000037DC: 807C2CFF 00000700
	buffer_load_dword v26, s[4:7], 0 offen lds                 // 0000000037E4: E0511000 8001001A
	ds_read_b128 a[72:75], v31 offset:1536                     // 0000000037EC: DBFE0600 4800001F
	ds_read_b128 a[76:79], v31 offset:1600                     // 0000000037F4: DBFE0640 4C00001F
	v_mfma_f32_16x16x16_bf16 v[44:47], a[112:113], a[16:17], v[44:47]// 0000000037FC: D3E1002C 1CB22170
	s_add_u32 m0, 0x800, s44                                   // 000000003804: 807C2CFF 00000800
	buffer_load_dword v27, s[4:7], 0 offen lds                 // 00000000380C: E0511000 8001001B
	v_mfma_f32_16x16x16_bf16 v[44:47], a[114:115], a[18:19], v[44:47]// 000000003814: D3E1002C 1CB22572
	s_add_u32 m0, 0x900, s44                                   // 00000000381C: 807C2CFF 00000900
	buffer_load_dword v28, s[4:7], 0 offen lds                 // 000000003824: E0511000 8001001C
	ds_read_b128 a[80:83], v31 offset:2048                     // 00000000382C: DBFE0800 5000001F
	ds_read_b128 a[84:87], v31 offset:2112                     // 000000003834: DBFE0840 5400001F
	v_mfma_f32_16x16x16_bf16 v[44:47], a[116:117], a[20:21], v[44:47]// 00000000383C: D3E1002C 1CB22974
	s_add_u32 m0, 0xa00, s44                                   // 000000003844: 807C2CFF 00000A00
	buffer_load_dword v29, s[4:7], 0 offen lds                 // 00000000384C: E0511000 8001001D
	v_mfma_f32_16x16x16_bf16 v[44:47], a[118:119], a[22:23], v[44:47]// 000000003854: D3E1002C 1CB22D76
	s_add_u32 m0, 0xb00, s44                                   // 00000000385C: 807C2CFF 00000B00
	buffer_load_dword v30, s[4:7], 0 offen lds                 // 000000003864: E0511000 8001001E
	ds_read_b128 a[88:91], v31 offset:2560                     // 00000000386C: DBFE0A00 5800001F
	ds_read_b128 a[92:95], v31 offset:2624                     // 000000003874: DBFE0A40 5C00001F
	v_mfma_f32_16x16x16_bf16 v[48:51], a[112:113], a[24:25], v[48:51]// 00000000387C: D3E10030 1CC23170
	s_add_u32 s31, 0x100, s33                                  // 000000003884: 801F21FF 00000100
	s_cmp_lt_u32 s31, s34                                      // 00000000388C: BF0A221F
	s_cselect_b32 s40, s40, 0                                  // 000000003890: 85288028
	buffer_load_dwordx4 a[104:107], v32, s[8:11], 0 offen      // 000000003894: E05C1000 80826820
	v_mfma_f32_16x16x16_bf16 v[48:51], a[114:115], a[26:27], v[48:51]// 00000000389C: D3E10030 1CC23572
	buffer_load_dwordx4 a[108:111], v33, s[8:11], 0 offen      // 0000000038A4: E05C1000 80826C21
	s_add_u32 s4, s40, s4                                      // 0000000038AC: 80040428
	s_addc_u32 s5, 0, s5                                       // 0000000038B0: 82050580
	v_mfma_f32_16x16x16_bf16 v[48:51], a[116:117], a[28:29], v[48:51]// 0000000038B4: D3E10030 1CC23974
	s_add_u32 s31, 0xc0, s33                                   // 0000000038BC: 801F21FF 000000C0
	s_cmp_lt_u32 s31, s34                                      // 0000000038C4: BF0A221F
	s_cselect_b32 s41, s41, 0                                  // 0000000038C8: 85298029
	v_mfma_f32_16x16x16_bf16 v[48:51], a[118:119], a[30:31], v[48:51]// 0000000038CC: D3E10030 1CC23D76
	s_add_u32 s8, s41, s8                                      // 0000000038D4: 80080829
	s_addc_u32 s9, 0, s9                                       // 0000000038D8: 82090980
	v_mfma_f32_16x16x16_bf16 v[52:55], a[112:113], a[32:33], v[52:55]// 0000000038DC: D3E10034 1CD24170
	v_mfma_f32_16x16x16_bf16 v[52:55], a[114:115], a[34:35], v[52:55]// 0000000038E4: D3E10034 1CD24572
	v_mfma_f32_16x16x16_bf16 v[52:55], a[116:117], a[36:37], v[52:55]// 0000000038EC: D3E10034 1CD24974
	v_mfma_f32_16x16x16_bf16 v[52:55], a[118:119], a[38:39], v[52:55]// 0000000038F4: D3E10034 1CD24D76
	v_mfma_f32_16x16x16_bf16 v[56:59], a[112:113], a[40:41], v[56:59]// 0000000038FC: D3E10038 1CE25170
	v_mfma_f32_16x16x16_bf16 v[56:59], a[114:115], a[42:43], v[56:59]// 000000003904: D3E10038 1CE25572
	v_mfma_f32_16x16x16_bf16 v[56:59], a[116:117], a[44:45], v[56:59]// 00000000390C: D3E10038 1CE25974
	v_mfma_f32_16x16x16_bf16 v[56:59], a[118:119], a[46:47], v[56:59]// 000000003914: D3E10038 1CE25D76
	s_addk_i32 s33, 0x40                                       // 00000000391C: B7210040
	s_cmp_lt_i32 s33, s34                                      // 000000003920: BF042221
	s_cbranch_scc0 label_08F8                                  // 000000003924: BF8404EE
	s_waitcnt vmcnt(14) lgkmcnt(0)                             // 000000003928: BF8C007E
	s_barrier                                                  // 00000000392C: BF8A0000
	v_mfma_f32_16x16x16_bf16 v[36:39], a[96:97], a[48:49], v[36:39]// 000000003930: D3E10024 1C926160
	s_add_u32 m0, 0, s42                                       // 000000003938: 807C2A80
	buffer_load_dword v19, s[4:7], 0 offen lds                 // 00000000393C: E0511000 80010013
	v_mfma_f32_16x16x16_bf16 v[36:39], a[98:99], a[50:51], v[36:39]// 000000003944: D3E10024 1C926562
	s_add_u32 m0, 0x100, s42                                   // 00000000394C: 807C2AFF 00000100
	buffer_load_dword v20, s[4:7], 0 offen lds                 // 000000003954: E0511000 80010014
	ds_read_b128 a[0:3], v31 offset:12416                      // 00000000395C: DBFE3080 0000001F
	ds_read_b128 a[4:7], v31 offset:12480                      // 000000003964: DBFE30C0 0400001F
	v_mfma_f32_16x16x16_bf16 v[36:39], a[100:101], a[52:53], v[36:39]// 00000000396C: D3E10024 1C926964
	s_add_u32 m0, 0x200, s42                                   // 000000003974: 807C2AFF 00000200
	buffer_load_dword v21, s[4:7], 0 offen lds                 // 00000000397C: E0511000 80010015
	v_mfma_f32_16x16x16_bf16 v[36:39], a[102:103], a[54:55], v[36:39]// 000000003984: D3E10024 1C926D66
	s_add_u32 m0, 0x300, s42                                   // 00000000398C: 807C2AFF 00000300
	buffer_load_dword v22, s[4:7], 0 offen lds                 // 000000003994: E0511000 80010016
	ds_read_b128 a[8:11], v31 offset:12928                     // 00000000399C: DBFE3280 0800001F
	ds_read_b128 a[12:15], v31 offset:12992                    // 0000000039A4: DBFE32C0 0C00001F
	v_mfma_f32_16x16x16_bf16 v[40:43], a[96:97], a[56:57], v[40:43]// 0000000039AC: D3E10028 1CA27160
	s_add_u32 m0, 0x400, s42                                   // 0000000039B4: 807C2AFF 00000400
	buffer_load_dword v23, s[4:7], 0 offen lds                 // 0000000039BC: E0511000 80010017
	v_mfma_f32_16x16x16_bf16 v[40:43], a[98:99], a[58:59], v[40:43]// 0000000039C4: D3E10028 1CA27562
	s_add_u32 m0, 0x500, s42                                   // 0000000039CC: 807C2AFF 00000500
	buffer_load_dword v24, s[4:7], 0 offen lds                 // 0000000039D4: E0511000 80010018
	ds_read_b128 a[16:19], v31 offset:13440                    // 0000000039DC: DBFE3480 1000001F
	ds_read_b128 a[20:23], v31 offset:13504                    // 0000000039E4: DBFE34C0 1400001F
	v_mfma_f32_16x16x16_bf16 v[40:43], a[100:101], a[60:61], v[40:43]// 0000000039EC: D3E10028 1CA27964
	s_add_u32 m0, 0x600, s42                                   // 0000000039F4: 807C2AFF 00000600
	buffer_load_dword v25, s[4:7], 0 offen lds                 // 0000000039FC: E0511000 80010019
	v_mfma_f32_16x16x16_bf16 v[40:43], a[102:103], a[62:63], v[40:43]// 000000003A04: D3E10028 1CA27D66
	s_add_u32 m0, 0x700, s42                                   // 000000003A0C: 807C2AFF 00000700
	buffer_load_dword v26, s[4:7], 0 offen lds                 // 000000003A14: E0511000 8001001A
	ds_read_b128 a[24:27], v31 offset:13952                    // 000000003A1C: DBFE3680 1800001F
	ds_read_b128 a[28:31], v31 offset:14016                    // 000000003A24: DBFE36C0 1C00001F
	v_mfma_f32_16x16x16_bf16 v[44:47], a[96:97], a[64:65], v[44:47]// 000000003A2C: D3E1002C 1CB28160
	s_add_u32 m0, 0x800, s42                                   // 000000003A34: 807C2AFF 00000800
	buffer_load_dword v27, s[4:7], 0 offen lds                 // 000000003A3C: E0511000 8001001B
	v_mfma_f32_16x16x16_bf16 v[44:47], a[98:99], a[66:67], v[44:47]// 000000003A44: D3E1002C 1CB28562
	s_add_u32 m0, 0x900, s42                                   // 000000003A4C: 807C2AFF 00000900
	buffer_load_dword v28, s[4:7], 0 offen lds                 // 000000003A54: E0511000 8001001C
	ds_read_b128 a[32:35], v31 offset:14464                    // 000000003A5C: DBFE3880 2000001F
	ds_read_b128 a[36:39], v31 offset:14528                    // 000000003A64: DBFE38C0 2400001F
	v_mfma_f32_16x16x16_bf16 v[44:47], a[100:101], a[68:69], v[44:47]// 000000003A6C: D3E1002C 1CB28964
	s_add_u32 m0, 0xa00, s42                                   // 000000003A74: 807C2AFF 00000A00
	buffer_load_dword v29, s[4:7], 0 offen lds                 // 000000003A7C: E0511000 8001001D
	v_mfma_f32_16x16x16_bf16 v[44:47], a[102:103], a[70:71], v[44:47]// 000000003A84: D3E1002C 1CB28D66
	s_add_u32 m0, 0xb00, s42                                   // 000000003A8C: 807C2AFF 00000B00
	buffer_load_dword v30, s[4:7], 0 offen lds                 // 000000003A94: E0511000 8001001E
	ds_read_b128 a[40:43], v31 offset:14976                    // 000000003A9C: DBFE3A80 2800001F
	ds_read_b128 a[44:47], v31 offset:15040                    // 000000003AA4: DBFE3AC0 2C00001F
	v_mfma_f32_16x16x16_bf16 v[48:51], a[96:97], a[72:73], v[48:51]// 000000003AAC: D3E10030 1CC29160
	s_add_u32 s31, 0x100, s33                                  // 000000003AB4: 801F21FF 00000100
	s_cmp_lt_u32 s31, s34                                      // 000000003ABC: BF0A221F
	s_cselect_b32 s40, s40, 0                                  // 000000003AC0: 85288028
	buffer_load_dwordx4 a[112:115], v32, s[8:11], 0 offen      // 000000003AC4: E05C1000 80827020
	v_mfma_f32_16x16x16_bf16 v[48:51], a[98:99], a[74:75], v[48:51]// 000000003ACC: D3E10030 1CC29562
	buffer_load_dwordx4 a[116:119], v33, s[8:11], 0 offen      // 000000003AD4: E05C1000 80827421
	s_add_u32 s4, s40, s4                                      // 000000003ADC: 80040428
	s_addc_u32 s5, 0, s5                                       // 000000003AE0: 82050580
	v_mfma_f32_16x16x16_bf16 v[48:51], a[100:101], a[76:77], v[48:51]// 000000003AE4: D3E10030 1CC29964
	s_add_u32 s31, 0xc0, s33                                   // 000000003AEC: 801F21FF 000000C0
	s_cmp_lt_u32 s31, s34                                      // 000000003AF4: BF0A221F
	s_cselect_b32 s41, s41, 0                                  // 000000003AF8: 85298029
	v_mfma_f32_16x16x16_bf16 v[48:51], a[102:103], a[78:79], v[48:51]// 000000003AFC: D3E10030 1CC29D66
	s_add_u32 s8, s41, s8                                      // 000000003B04: 80080829
	s_addc_u32 s9, 0, s9                                       // 000000003B08: 82090980
	v_mfma_f32_16x16x16_bf16 v[52:55], a[96:97], a[80:81], v[52:55]// 000000003B0C: D3E10034 1CD2A160
	v_mfma_f32_16x16x16_bf16 v[52:55], a[98:99], a[82:83], v[52:55]// 000000003B14: D3E10034 1CD2A562
	v_mfma_f32_16x16x16_bf16 v[52:55], a[100:101], a[84:85], v[52:55]// 000000003B1C: D3E10034 1CD2A964
	v_mfma_f32_16x16x16_bf16 v[52:55], a[102:103], a[86:87], v[52:55]// 000000003B24: D3E10034 1CD2AD66
	v_mfma_f32_16x16x16_bf16 v[56:59], a[96:97], a[88:89], v[56:59]// 000000003B2C: D3E10038 1CE2B160
	v_mfma_f32_16x16x16_bf16 v[56:59], a[98:99], a[90:91], v[56:59]// 000000003B34: D3E10038 1CE2B562
	v_mfma_f32_16x16x16_bf16 v[56:59], a[100:101], a[92:93], v[56:59]// 000000003B3C: D3E10038 1CE2B964
	v_mfma_f32_16x16x16_bf16 v[56:59], a[102:103], a[94:95], v[56:59]// 000000003B44: D3E10038 1CE2BD66
	s_addk_i32 s33, 0x40                                       // 000000003B4C: B7210040
	s_cmp_lt_i32 s33, s34                                      // 000000003B50: BF042221
	s_cbranch_scc0 label_08F8                                  // 000000003B54: BF840462
	s_waitcnt vmcnt(14) lgkmcnt(0)                             // 000000003B58: BF8C007E
	s_barrier                                                  // 000000003B5C: BF8A0000
	v_mfma_f32_16x16x16_bf16 v[36:39], a[104:105], a[0:1], v[36:39]// 000000003B60: D3E10024 1C920168
	s_add_u32 m0, 0, s43                                       // 000000003B68: 807C2B80
	buffer_load_dword v19, s[4:7], 0 offen lds                 // 000000003B6C: E0511000 80010013
	v_mfma_f32_16x16x16_bf16 v[36:39], a[106:107], a[2:3], v[36:39]// 000000003B74: D3E10024 1C92056A
	s_add_u32 m0, 0x100, s43                                   // 000000003B7C: 807C2BFF 00000100
	buffer_load_dword v20, s[4:7], 0 offen lds                 // 000000003B84: E0511000 80010014
	ds_read_b128 a[48:51], v31 offset:24832                    // 000000003B8C: DBFE6100 3000001F
	ds_read_b128 a[52:55], v31 offset:24896                    // 000000003B94: DBFE6140 3400001F
	v_mfma_f32_16x16x16_bf16 v[36:39], a[108:109], a[4:5], v[36:39]// 000000003B9C: D3E10024 1C92096C
	s_add_u32 m0, 0x200, s43                                   // 000000003BA4: 807C2BFF 00000200
	buffer_load_dword v21, s[4:7], 0 offen lds                 // 000000003BAC: E0511000 80010015
	v_mfma_f32_16x16x16_bf16 v[36:39], a[110:111], a[6:7], v[36:39]// 000000003BB4: D3E10024 1C920D6E
	s_add_u32 m0, 0x300, s43                                   // 000000003BBC: 807C2BFF 00000300
	buffer_load_dword v22, s[4:7], 0 offen lds                 // 000000003BC4: E0511000 80010016
	ds_read_b128 a[56:59], v31 offset:25344                    // 000000003BCC: DBFE6300 3800001F
	ds_read_b128 a[60:63], v31 offset:25408                    // 000000003BD4: DBFE6340 3C00001F
	v_mfma_f32_16x16x16_bf16 v[40:43], a[104:105], a[8:9], v[40:43]// 000000003BDC: D3E10028 1CA21168
	s_add_u32 m0, 0x400, s43                                   // 000000003BE4: 807C2BFF 00000400
	buffer_load_dword v23, s[4:7], 0 offen lds                 // 000000003BEC: E0511000 80010017
	v_mfma_f32_16x16x16_bf16 v[40:43], a[106:107], a[10:11], v[40:43]// 000000003BF4: D3E10028 1CA2156A
	s_add_u32 m0, 0x500, s43                                   // 000000003BFC: 807C2BFF 00000500
	buffer_load_dword v24, s[4:7], 0 offen lds                 // 000000003C04: E0511000 80010018
	ds_read_b128 a[64:67], v31 offset:25856                    // 000000003C0C: DBFE6500 4000001F
	ds_read_b128 a[68:71], v31 offset:25920                    // 000000003C14: DBFE6540 4400001F
	v_mfma_f32_16x16x16_bf16 v[40:43], a[108:109], a[12:13], v[40:43]// 000000003C1C: D3E10028 1CA2196C
	s_add_u32 m0, 0x600, s43                                   // 000000003C24: 807C2BFF 00000600
	buffer_load_dword v25, s[4:7], 0 offen lds                 // 000000003C2C: E0511000 80010019
	v_mfma_f32_16x16x16_bf16 v[40:43], a[110:111], a[14:15], v[40:43]// 000000003C34: D3E10028 1CA21D6E
	s_add_u32 m0, 0x700, s43                                   // 000000003C3C: 807C2BFF 00000700
	buffer_load_dword v26, s[4:7], 0 offen lds                 // 000000003C44: E0511000 8001001A
	ds_read_b128 a[72:75], v31 offset:26368                    // 000000003C4C: DBFE6700 4800001F
	ds_read_b128 a[76:79], v31 offset:26432                    // 000000003C54: DBFE6740 4C00001F
	v_mfma_f32_16x16x16_bf16 v[44:47], a[104:105], a[16:17], v[44:47]// 000000003C5C: D3E1002C 1CB22168
	s_add_u32 m0, 0x800, s43                                   // 000000003C64: 807C2BFF 00000800
	buffer_load_dword v27, s[4:7], 0 offen lds                 // 000000003C6C: E0511000 8001001B
	v_mfma_f32_16x16x16_bf16 v[44:47], a[106:107], a[18:19], v[44:47]// 000000003C74: D3E1002C 1CB2256A
	s_add_u32 m0, 0x900, s43                                   // 000000003C7C: 807C2BFF 00000900
	buffer_load_dword v28, s[4:7], 0 offen lds                 // 000000003C84: E0511000 8001001C
	ds_read_b128 a[80:83], v31 offset:26880                    // 000000003C8C: DBFE6900 5000001F
	ds_read_b128 a[84:87], v31 offset:26944                    // 000000003C94: DBFE6940 5400001F
	v_mfma_f32_16x16x16_bf16 v[44:47], a[108:109], a[20:21], v[44:47]// 000000003C9C: D3E1002C 1CB2296C
	s_add_u32 m0, 0xa00, s43                                   // 000000003CA4: 807C2BFF 00000A00
	buffer_load_dword v29, s[4:7], 0 offen lds                 // 000000003CAC: E0511000 8001001D
	v_mfma_f32_16x16x16_bf16 v[44:47], a[110:111], a[22:23], v[44:47]// 000000003CB4: D3E1002C 1CB22D6E
	s_add_u32 m0, 0xb00, s43                                   // 000000003CBC: 807C2BFF 00000B00
	buffer_load_dword v30, s[4:7], 0 offen lds                 // 000000003CC4: E0511000 8001001E
	ds_read_b128 a[88:91], v31 offset:27392                    // 000000003CCC: DBFE6B00 5800001F
	ds_read_b128 a[92:95], v31 offset:27456                    // 000000003CD4: DBFE6B40 5C00001F
	v_mfma_f32_16x16x16_bf16 v[48:51], a[104:105], a[24:25], v[48:51]// 000000003CDC: D3E10030 1CC23168
	s_add_u32 s31, 0x100, s33                                  // 000000003CE4: 801F21FF 00000100
	s_cmp_lt_u32 s31, s34                                      // 000000003CEC: BF0A221F
	s_cselect_b32 s40, s40, 0                                  // 000000003CF0: 85288028
	buffer_load_dwordx4 a[96:99], v32, s[8:11], 0 offen        // 000000003CF4: E05C1000 80826020
	v_mfma_f32_16x16x16_bf16 v[48:51], a[106:107], a[26:27], v[48:51]// 000000003CFC: D3E10030 1CC2356A
	buffer_load_dwordx4 a[100:103], v33, s[8:11], 0 offen      // 000000003D04: E05C1000 80826421
	s_add_u32 s4, s40, s4                                      // 000000003D0C: 80040428
	s_addc_u32 s5, 0, s5                                       // 000000003D10: 82050580
	v_mfma_f32_16x16x16_bf16 v[48:51], a[108:109], a[28:29], v[48:51]// 000000003D14: D3E10030 1CC2396C
	s_add_u32 s31, 0xc0, s33                                   // 000000003D1C: 801F21FF 000000C0
	s_cmp_lt_u32 s31, s34                                      // 000000003D24: BF0A221F
	s_cselect_b32 s41, s41, 0                                  // 000000003D28: 85298029
	v_mfma_f32_16x16x16_bf16 v[48:51], a[110:111], a[30:31], v[48:51]// 000000003D2C: D3E10030 1CC23D6E
	s_add_u32 s8, s41, s8                                      // 000000003D34: 80080829
	s_addc_u32 s9, 0, s9                                       // 000000003D38: 82090980
	v_mfma_f32_16x16x16_bf16 v[52:55], a[104:105], a[32:33], v[52:55]// 000000003D3C: D3E10034 1CD24168
	v_mfma_f32_16x16x16_bf16 v[52:55], a[106:107], a[34:35], v[52:55]// 000000003D44: D3E10034 1CD2456A
	v_mfma_f32_16x16x16_bf16 v[52:55], a[108:109], a[36:37], v[52:55]// 000000003D4C: D3E10034 1CD2496C
	v_mfma_f32_16x16x16_bf16 v[52:55], a[110:111], a[38:39], v[52:55]// 000000003D54: D3E10034 1CD24D6E
	v_mfma_f32_16x16x16_bf16 v[56:59], a[104:105], a[40:41], v[56:59]// 000000003D5C: D3E10038 1CE25168
	v_mfma_f32_16x16x16_bf16 v[56:59], a[106:107], a[42:43], v[56:59]// 000000003D64: D3E10038 1CE2556A
	v_mfma_f32_16x16x16_bf16 v[56:59], a[108:109], a[44:45], v[56:59]// 000000003D6C: D3E10038 1CE2596C
	v_mfma_f32_16x16x16_bf16 v[56:59], a[110:111], a[46:47], v[56:59]// 000000003D74: D3E10038 1CE25D6E
	s_addk_i32 s33, 0x40                                       // 000000003D7C: B7210040
	s_cmp_lt_i32 s33, s34                                      // 000000003D80: BF042221
	s_cbranch_scc0 label_08F8                                  // 000000003D84: BF8403D6
	s_waitcnt vmcnt(14) lgkmcnt(0)                             // 000000003D88: BF8C007E
	s_barrier                                                  // 000000003D8C: BF8A0000
	v_mfma_f32_16x16x16_bf16 v[36:39], a[112:113], a[48:49], v[36:39]// 000000003D90: D3E10024 1C926170
	s_add_u32 m0, 0, s44                                       // 000000003D98: 807C2C80
	buffer_load_dword v19, s[4:7], 0 offen lds                 // 000000003D9C: E0511000 80010013
	v_mfma_f32_16x16x16_bf16 v[36:39], a[114:115], a[50:51], v[36:39]// 000000003DA4: D3E10024 1C926572
	s_add_u32 m0, 0x100, s44                                   // 000000003DAC: 807C2CFF 00000100
	buffer_load_dword v20, s[4:7], 0 offen lds                 // 000000003DB4: E0511000 80010014
	ds_read_b128 a[0:3], v31                                   // 000000003DBC: DBFE0000 0000001F
	ds_read_b128 a[4:7], v31 offset:64                         // 000000003DC4: DBFE0040 0400001F
	v_mfma_f32_16x16x16_bf16 v[36:39], a[116:117], a[52:53], v[36:39]// 000000003DCC: D3E10024 1C926974
	s_add_u32 m0, 0x200, s44                                   // 000000003DD4: 807C2CFF 00000200
	buffer_load_dword v21, s[4:7], 0 offen lds                 // 000000003DDC: E0511000 80010015
	v_mfma_f32_16x16x16_bf16 v[36:39], a[118:119], a[54:55], v[36:39]// 000000003DE4: D3E10024 1C926D76
	s_add_u32 m0, 0x300, s44                                   // 000000003DEC: 807C2CFF 00000300
	buffer_load_dword v22, s[4:7], 0 offen lds                 // 000000003DF4: E0511000 80010016
	ds_read_b128 a[8:11], v31 offset:512                       // 000000003DFC: DBFE0200 0800001F
	ds_read_b128 a[12:15], v31 offset:576                      // 000000003E04: DBFE0240 0C00001F
	v_mfma_f32_16x16x16_bf16 v[40:43], a[112:113], a[56:57], v[40:43]// 000000003E0C: D3E10028 1CA27170
	s_add_u32 m0, 0x400, s44                                   // 000000003E14: 807C2CFF 00000400
	buffer_load_dword v23, s[4:7], 0 offen lds                 // 000000003E1C: E0511000 80010017
	v_mfma_f32_16x16x16_bf16 v[40:43], a[114:115], a[58:59], v[40:43]// 000000003E24: D3E10028 1CA27572
	s_add_u32 m0, 0x500, s44                                   // 000000003E2C: 807C2CFF 00000500
	buffer_load_dword v24, s[4:7], 0 offen lds                 // 000000003E34: E0511000 80010018
	ds_read_b128 a[16:19], v31 offset:1024                     // 000000003E3C: DBFE0400 1000001F
	ds_read_b128 a[20:23], v31 offset:1088                     // 000000003E44: DBFE0440 1400001F
	v_mfma_f32_16x16x16_bf16 v[40:43], a[116:117], a[60:61], v[40:43]// 000000003E4C: D3E10028 1CA27974
	s_add_u32 m0, 0x600, s44                                   // 000000003E54: 807C2CFF 00000600
	buffer_load_dword v25, s[4:7], 0 offen lds                 // 000000003E5C: E0511000 80010019
	v_mfma_f32_16x16x16_bf16 v[40:43], a[118:119], a[62:63], v[40:43]// 000000003E64: D3E10028 1CA27D76
	s_add_u32 m0, 0x700, s44                                   // 000000003E6C: 807C2CFF 00000700
	buffer_load_dword v26, s[4:7], 0 offen lds                 // 000000003E74: E0511000 8001001A
	ds_read_b128 a[24:27], v31 offset:1536                     // 000000003E7C: DBFE0600 1800001F
	ds_read_b128 a[28:31], v31 offset:1600                     // 000000003E84: DBFE0640 1C00001F
	v_mfma_f32_16x16x16_bf16 v[44:47], a[112:113], a[64:65], v[44:47]// 000000003E8C: D3E1002C 1CB28170
	s_add_u32 m0, 0x800, s44                                   // 000000003E94: 807C2CFF 00000800
	buffer_load_dword v27, s[4:7], 0 offen lds                 // 000000003E9C: E0511000 8001001B
	v_mfma_f32_16x16x16_bf16 v[44:47], a[114:115], a[66:67], v[44:47]// 000000003EA4: D3E1002C 1CB28572
	s_add_u32 m0, 0x900, s44                                   // 000000003EAC: 807C2CFF 00000900
	buffer_load_dword v28, s[4:7], 0 offen lds                 // 000000003EB4: E0511000 8001001C
	ds_read_b128 a[32:35], v31 offset:2048                     // 000000003EBC: DBFE0800 2000001F
	ds_read_b128 a[36:39], v31 offset:2112                     // 000000003EC4: DBFE0840 2400001F
	v_mfma_f32_16x16x16_bf16 v[44:47], a[116:117], a[68:69], v[44:47]// 000000003ECC: D3E1002C 1CB28974
	s_add_u32 m0, 0xa00, s44                                   // 000000003ED4: 807C2CFF 00000A00
	buffer_load_dword v29, s[4:7], 0 offen lds                 // 000000003EDC: E0511000 8001001D
	v_mfma_f32_16x16x16_bf16 v[44:47], a[118:119], a[70:71], v[44:47]// 000000003EE4: D3E1002C 1CB28D76
	s_add_u32 m0, 0xb00, s44                                   // 000000003EEC: 807C2CFF 00000B00
	buffer_load_dword v30, s[4:7], 0 offen lds                 // 000000003EF4: E0511000 8001001E
	ds_read_b128 a[40:43], v31 offset:2560                     // 000000003EFC: DBFE0A00 2800001F
	ds_read_b128 a[44:47], v31 offset:2624                     // 000000003F04: DBFE0A40 2C00001F
	v_mfma_f32_16x16x16_bf16 v[48:51], a[112:113], a[72:73], v[48:51]// 000000003F0C: D3E10030 1CC29170
	s_add_u32 s31, 0x100, s33                                  // 000000003F14: 801F21FF 00000100
	s_cmp_lt_u32 s31, s34                                      // 000000003F1C: BF0A221F
	s_cselect_b32 s40, s40, 0                                  // 000000003F20: 85288028
	buffer_load_dwordx4 a[104:107], v32, s[8:11], 0 offen      // 000000003F24: E05C1000 80826820
	v_mfma_f32_16x16x16_bf16 v[48:51], a[114:115], a[74:75], v[48:51]// 000000003F2C: D3E10030 1CC29572
	buffer_load_dwordx4 a[108:111], v33, s[8:11], 0 offen      // 000000003F34: E05C1000 80826C21
	s_add_u32 s4, s40, s4                                      // 000000003F3C: 80040428
	s_addc_u32 s5, 0, s5                                       // 000000003F40: 82050580
	v_mfma_f32_16x16x16_bf16 v[48:51], a[116:117], a[76:77], v[48:51]// 000000003F44: D3E10030 1CC29974
	s_add_u32 s31, 0xc0, s33                                   // 000000003F4C: 801F21FF 000000C0
	s_cmp_lt_u32 s31, s34                                      // 000000003F54: BF0A221F
	s_cselect_b32 s41, s41, 0                                  // 000000003F58: 85298029
	v_mfma_f32_16x16x16_bf16 v[48:51], a[118:119], a[78:79], v[48:51]// 000000003F5C: D3E10030 1CC29D76
	s_add_u32 s8, s41, s8                                      // 000000003F64: 80080829
	s_addc_u32 s9, 0, s9                                       // 000000003F68: 82090980
	v_mfma_f32_16x16x16_bf16 v[52:55], a[112:113], a[80:81], v[52:55]// 000000003F6C: D3E10034 1CD2A170
	v_mfma_f32_16x16x16_bf16 v[52:55], a[114:115], a[82:83], v[52:55]// 000000003F74: D3E10034 1CD2A572
	v_mfma_f32_16x16x16_bf16 v[52:55], a[116:117], a[84:85], v[52:55]// 000000003F7C: D3E10034 1CD2A974
	v_mfma_f32_16x16x16_bf16 v[52:55], a[118:119], a[86:87], v[52:55]// 000000003F84: D3E10034 1CD2AD76
	v_mfma_f32_16x16x16_bf16 v[56:59], a[112:113], a[88:89], v[56:59]// 000000003F8C: D3E10038 1CE2B170
	v_mfma_f32_16x16x16_bf16 v[56:59], a[114:115], a[90:91], v[56:59]// 000000003F94: D3E10038 1CE2B572
	v_mfma_f32_16x16x16_bf16 v[56:59], a[116:117], a[92:93], v[56:59]// 000000003F9C: D3E10038 1CE2B974
	v_mfma_f32_16x16x16_bf16 v[56:59], a[118:119], a[94:95], v[56:59]// 000000003FA4: D3E10038 1CE2BD76
	s_addk_i32 s33, 0x40                                       // 000000003FAC: B7210040
	s_cmp_lt_i32 s33, s34                                      // 000000003FB0: BF042221
	s_cbranch_scc0 label_08F8                                  // 000000003FB4: BF84034A
	s_branch label_0266                                        // 000000003FB8: BF82FCB7

0000000000003fbc <label_05AF>:
	s_waitcnt vmcnt(14) lgkmcnt(0)                             // 000000003FBC: BF8C007E
	s_barrier                                                  // 000000003FC0: BF8A0000
	v_mfma_f32_16x16x16_bf16 v[36:39], a[96:97], a[0:1], v[36:39]// 000000003FC4: D3E10024 1C920160
	s_add_u32 m0, 0, s42                                       // 000000003FCC: 807C2A80
	buffer_load_dword v19, s[4:7], 0 offen lds                 // 000000003FD0: E0511000 80010013
	ds_read_b128 a[48:51], v31 offset:12416                    // 000000003FD8: DBFE3080 3000001F
	ds_read_b128 a[52:55], v31 offset:12480                    // 000000003FE0: DBFE30C0 3400001F
	v_mfma_f32_16x16x16_bf16 v[36:39], a[98:99], a[2:3], v[36:39]// 000000003FE8: D3E10024 1C920562
	s_add_u32 m0, 0x100, s42                                   // 000000003FF0: 807C2AFF 00000100
	buffer_load_dword v20, s[4:7], 0 offen lds                 // 000000003FF8: E0511000 80010014
	v_mfma_f32_16x16x16_bf16 v[36:39], a[100:101], a[4:5], v[36:39]// 000000004000: D3E10024 1C920964
	s_add_u32 m0, 0x200, s42                                   // 000000004008: 807C2AFF 00000200
	buffer_load_dword v21, s[4:7], 0 offen lds                 // 000000004010: E0511000 80010015
	ds_read_b128 a[56:59], v31 offset:12928                    // 000000004018: DBFE3280 3800001F
	ds_read_b128 a[60:63], v31 offset:12992                    // 000000004020: DBFE32C0 3C00001F
	v_mfma_f32_16x16x16_bf16 v[36:39], a[102:103], a[6:7], v[36:39]// 000000004028: D3E10024 1C920D66
	s_add_u32 m0, 0x300, s42                                   // 000000004030: 807C2AFF 00000300
	buffer_load_dword v22, s[4:7], 0 offen lds                 // 000000004038: E0511000 80010016
	v_mfma_f32_16x16x16_bf16 v[40:43], a[96:97], a[8:9], v[40:43]// 000000004040: D3E10028 1CA21160
	s_add_u32 m0, 0x400, s42                                   // 000000004048: 807C2AFF 00000400
	buffer_load_dword v23, s[4:7], 0 offen lds                 // 000000004050: E0511000 80010017
	ds_read_b128 a[64:67], v31 offset:13440                    // 000000004058: DBFE3480 4000001F
	ds_read_b128 a[68:71], v31 offset:13504                    // 000000004060: DBFE34C0 4400001F
	v_mfma_f32_16x16x16_bf16 v[40:43], a[98:99], a[10:11], v[40:43]// 000000004068: D3E10028 1CA21562
	s_add_u32 m0, 0x500, s42                                   // 000000004070: 807C2AFF 00000500
	buffer_load_dword v24, s[4:7], 0 offen lds                 // 000000004078: E0511000 80010018
	v_mfma_f32_16x16x16_bf16 v[40:43], a[100:101], a[12:13], v[40:43]// 000000004080: D3E10028 1CA21964
	s_add_u32 m0, 0x600, s42                                   // 000000004088: 807C2AFF 00000600
	buffer_load_dword v25, s[4:7], 0 offen lds                 // 000000004090: E0511000 80010019
	ds_read_b128 a[72:75], v31 offset:13952                    // 000000004098: DBFE3680 4800001F
	ds_read_b128 a[76:79], v31 offset:14016                    // 0000000040A0: DBFE36C0 4C00001F
	v_mfma_f32_16x16x16_bf16 v[40:43], a[102:103], a[14:15], v[40:43]// 0000000040A8: D3E10028 1CA21D66
	s_add_u32 m0, 0x700, s42                                   // 0000000040B0: 807C2AFF 00000700
	buffer_load_dword v26, s[4:7], 0 offen lds                 // 0000000040B8: E0511000 8001001A
	v_mfma_f32_16x16x16_bf16 v[44:47], a[96:97], a[16:17], v[44:47]// 0000000040C0: D3E1002C 1CB22160
	s_add_u32 m0, 0x800, s42                                   // 0000000040C8: 807C2AFF 00000800
	buffer_load_dword v27, s[4:7], 0 offen lds                 // 0000000040D0: E0511000 8001001B
	ds_read_b128 a[80:83], v31 offset:14464                    // 0000000040D8: DBFE3880 5000001F
	ds_read_b128 a[84:87], v31 offset:14528                    // 0000000040E0: DBFE38C0 5400001F
	v_mfma_f32_16x16x16_bf16 v[44:47], a[98:99], a[18:19], v[44:47]// 0000000040E8: D3E1002C 1CB22562
	s_add_u32 m0, 0x900, s42                                   // 0000000040F0: 807C2AFF 00000900
	buffer_load_dword v28, s[4:7], 0 offen lds                 // 0000000040F8: E0511000 8001001C
	v_mfma_f32_16x16x16_bf16 v[44:47], a[100:101], a[20:21], v[44:47]// 000000004100: D3E1002C 1CB22964
	s_add_u32 m0, 0xa00, s42                                   // 000000004108: 807C2AFF 00000A00
	buffer_load_dword v29, s[4:7], 0 offen lds                 // 000000004110: E0511000 8001001D
	ds_read_b128 a[88:91], v31 offset:14976                    // 000000004118: DBFE3A80 5800001F
	ds_read_b128 a[92:95], v31 offset:15040                    // 000000004120: DBFE3AC0 5C00001F
	v_mfma_f32_16x16x16_bf16 v[44:47], a[102:103], a[22:23], v[44:47]// 000000004128: D3E1002C 1CB22D66
	s_add_u32 m0, 0xb00, s42                                   // 000000004130: 807C2AFF 00000B00
	buffer_load_dword v30, s[4:7], 0 offen lds                 // 000000004138: E0511000 8001001E
	v_mfma_f32_16x16x16_bf16 v[48:51], a[96:97], a[24:25], v[48:51]// 000000004140: D3E10030 1CC23160
	s_add_u32 s31, 0x100, s33                                  // 000000004148: 801F21FF 00000100
	s_cmp_lt_u32 s31, s34                                      // 000000004150: BF0A221F
	s_cselect_b32 s40, s40, 0                                  // 000000004154: 85288028
	buffer_load_dwordx4 a[112:115], v32, s[8:11], 0 offen      // 000000004158: E05C1000 80827020
	s_add_u32 s4, s40, s4                                      // 000000004160: 80040428
	s_addc_u32 s5, 0, s5                                       // 000000004164: 82050580
	v_mfma_f32_16x16x16_bf16 v[48:51], a[98:99], a[26:27], v[48:51]// 000000004168: D3E10030 1CC23562
	buffer_load_dwordx4 a[116:119], v33, s[8:11], 0 offen      // 000000004170: E05C1000 80827421
	v_mfma_f32_16x16x16_bf16 v[48:51], a[100:101], a[28:29], v[48:51]// 000000004178: D3E10030 1CC23964
	s_add_u32 s31, 0xc0, s33                                   // 000000004180: 801F21FF 000000C0
	s_cmp_lt_u32 s31, s34                                      // 000000004188: BF0A221F
	s_cselect_b32 s41, s41, 0                                  // 00000000418C: 85298029
	s_add_u32 s8, s41, s8                                      // 000000004190: 80080829
	s_addc_u32 s9, 0, s9                                       // 000000004194: 82090980
	v_mfma_f32_16x16x16_bf16 v[48:51], a[102:103], a[30:31], v[48:51]// 000000004198: D3E10030 1CC23D66
	v_mfma_f32_16x16x16_bf16 v[52:55], a[96:97], a[32:33], v[52:55]// 0000000041A0: D3E10034 1CD24160
	v_mfma_f32_16x16x16_bf16 v[52:55], a[98:99], a[34:35], v[52:55]// 0000000041A8: D3E10034 1CD24562
	v_mfma_f32_16x16x16_bf16 v[52:55], a[100:101], a[36:37], v[52:55]// 0000000041B0: D3E10034 1CD24964
	v_mfma_f32_16x16x16_bf16 v[52:55], a[102:103], a[38:39], v[52:55]// 0000000041B8: D3E10034 1CD24D66
	v_mfma_f32_16x16x16_bf16 v[56:59], a[96:97], a[40:41], v[56:59]// 0000000041C0: D3E10038 1CE25160
	v_mfma_f32_16x16x16_bf16 v[56:59], a[98:99], a[42:43], v[56:59]// 0000000041C8: D3E10038 1CE25562
	v_mfma_f32_16x16x16_bf16 v[56:59], a[100:101], a[44:45], v[56:59]// 0000000041D0: D3E10038 1CE25964
	v_mfma_f32_16x16x16_bf16 v[56:59], a[102:103], a[46:47], v[56:59]// 0000000041D8: D3E10038 1CE25D66
	s_addk_i32 s33, 0x40                                       // 0000000041E0: B7210040
	s_cmp_lt_i32 s33, s34                                      // 0000000041E4: BF042221
	s_cbranch_scc0 label_08F8                                  // 0000000041E8: BF8402BD
	s_waitcnt vmcnt(14) lgkmcnt(0)                             // 0000000041EC: BF8C007E
	s_barrier                                                  // 0000000041F0: BF8A0000
	v_mfma_f32_16x16x16_bf16 v[36:39], a[104:105], a[48:49], v[36:39]// 0000000041F4: D3E10024 1C926168
	s_add_u32 m0, 0, s43                                       // 0000000041FC: 807C2B80
	buffer_load_dword v19, s[4:7], 0 offen lds                 // 000000004200: E0511000 80010013
	ds_read_b128 a[0:3], v31 offset:24832                      // 000000004208: DBFE6100 0000001F
	ds_read_b128 a[4:7], v31 offset:24896                      // 000000004210: DBFE6140 0400001F
	v_mfma_f32_16x16x16_bf16 v[36:39], a[106:107], a[50:51], v[36:39]// 000000004218: D3E10024 1C92656A
	s_add_u32 m0, 0x100, s43                                   // 000000004220: 807C2BFF 00000100
	buffer_load_dword v20, s[4:7], 0 offen lds                 // 000000004228: E0511000 80010014
	v_mfma_f32_16x16x16_bf16 v[36:39], a[108:109], a[52:53], v[36:39]// 000000004230: D3E10024 1C92696C
	s_add_u32 m0, 0x200, s43                                   // 000000004238: 807C2BFF 00000200
	buffer_load_dword v21, s[4:7], 0 offen lds                 // 000000004240: E0511000 80010015
	ds_read_b128 a[8:11], v31 offset:25344                     // 000000004248: DBFE6300 0800001F
	ds_read_b128 a[12:15], v31 offset:25408                    // 000000004250: DBFE6340 0C00001F
	v_mfma_f32_16x16x16_bf16 v[36:39], a[110:111], a[54:55], v[36:39]// 000000004258: D3E10024 1C926D6E
	s_add_u32 m0, 0x300, s43                                   // 000000004260: 807C2BFF 00000300
	buffer_load_dword v22, s[4:7], 0 offen lds                 // 000000004268: E0511000 80010016
	v_mfma_f32_16x16x16_bf16 v[40:43], a[104:105], a[56:57], v[40:43]// 000000004270: D3E10028 1CA27168
	s_add_u32 m0, 0x400, s43                                   // 000000004278: 807C2BFF 00000400
	buffer_load_dword v23, s[4:7], 0 offen lds                 // 000000004280: E0511000 80010017
	ds_read_b128 a[16:19], v31 offset:25856                    // 000000004288: DBFE6500 1000001F
	ds_read_b128 a[20:23], v31 offset:25920                    // 000000004290: DBFE6540 1400001F
	v_mfma_f32_16x16x16_bf16 v[40:43], a[106:107], a[58:59], v[40:43]// 000000004298: D3E10028 1CA2756A
	s_add_u32 m0, 0x500, s43                                   // 0000000042A0: 807C2BFF 00000500
	buffer_load_dword v24, s[4:7], 0 offen lds                 // 0000000042A8: E0511000 80010018
	v_mfma_f32_16x16x16_bf16 v[40:43], a[108:109], a[60:61], v[40:43]// 0000000042B0: D3E10028 1CA2796C
	s_add_u32 m0, 0x600, s43                                   // 0000000042B8: 807C2BFF 00000600
	buffer_load_dword v25, s[4:7], 0 offen lds                 // 0000000042C0: E0511000 80010019
	ds_read_b128 a[24:27], v31 offset:26368                    // 0000000042C8: DBFE6700 1800001F
	ds_read_b128 a[28:31], v31 offset:26432                    // 0000000042D0: DBFE6740 1C00001F
	v_mfma_f32_16x16x16_bf16 v[40:43], a[110:111], a[62:63], v[40:43]// 0000000042D8: D3E10028 1CA27D6E
	s_add_u32 m0, 0x700, s43                                   // 0000000042E0: 807C2BFF 00000700
	buffer_load_dword v26, s[4:7], 0 offen lds                 // 0000000042E8: E0511000 8001001A
	v_mfma_f32_16x16x16_bf16 v[44:47], a[104:105], a[64:65], v[44:47]// 0000000042F0: D3E1002C 1CB28168
	s_add_u32 m0, 0x800, s43                                   // 0000000042F8: 807C2BFF 00000800
	buffer_load_dword v27, s[4:7], 0 offen lds                 // 000000004300: E0511000 8001001B
	ds_read_b128 a[32:35], v31 offset:26880                    // 000000004308: DBFE6900 2000001F
	ds_read_b128 a[36:39], v31 offset:26944                    // 000000004310: DBFE6940 2400001F
	v_mfma_f32_16x16x16_bf16 v[44:47], a[106:107], a[66:67], v[44:47]// 000000004318: D3E1002C 1CB2856A
	s_add_u32 m0, 0x900, s43                                   // 000000004320: 807C2BFF 00000900
	buffer_load_dword v28, s[4:7], 0 offen lds                 // 000000004328: E0511000 8001001C
	v_mfma_f32_16x16x16_bf16 v[44:47], a[108:109], a[68:69], v[44:47]// 000000004330: D3E1002C 1CB2896C
	s_add_u32 m0, 0xa00, s43                                   // 000000004338: 807C2BFF 00000A00
	buffer_load_dword v29, s[4:7], 0 offen lds                 // 000000004340: E0511000 8001001D
	ds_read_b128 a[40:43], v31 offset:27392                    // 000000004348: DBFE6B00 2800001F
	ds_read_b128 a[44:47], v31 offset:27456                    // 000000004350: DBFE6B40 2C00001F
	v_mfma_f32_16x16x16_bf16 v[44:47], a[110:111], a[70:71], v[44:47]// 000000004358: D3E1002C 1CB28D6E
	s_add_u32 m0, 0xb00, s43                                   // 000000004360: 807C2BFF 00000B00
	buffer_load_dword v30, s[4:7], 0 offen lds                 // 000000004368: E0511000 8001001E
	v_mfma_f32_16x16x16_bf16 v[48:51], a[104:105], a[72:73], v[48:51]// 000000004370: D3E10030 1CC29168
	s_add_u32 s31, 0x100, s33                                  // 000000004378: 801F21FF 00000100
	s_cmp_lt_u32 s31, s34                                      // 000000004380: BF0A221F
	s_cselect_b32 s40, s40, 0                                  // 000000004384: 85288028
	buffer_load_dwordx4 a[96:99], v32, s[8:11], 0 offen        // 000000004388: E05C1000 80826020
	s_add_u32 s4, s40, s4                                      // 000000004390: 80040428
	s_addc_u32 s5, 0, s5                                       // 000000004394: 82050580
	v_mfma_f32_16x16x16_bf16 v[48:51], a[106:107], a[74:75], v[48:51]// 000000004398: D3E10030 1CC2956A
	buffer_load_dwordx4 a[100:103], v33, s[8:11], 0 offen      // 0000000043A0: E05C1000 80826421
	v_mfma_f32_16x16x16_bf16 v[48:51], a[108:109], a[76:77], v[48:51]// 0000000043A8: D3E10030 1CC2996C
	s_add_u32 s31, 0xc0, s33                                   // 0000000043B0: 801F21FF 000000C0
	s_cmp_lt_u32 s31, s34                                      // 0000000043B8: BF0A221F
	s_cselect_b32 s41, s41, 0                                  // 0000000043BC: 85298029
	s_add_u32 s8, s41, s8                                      // 0000000043C0: 80080829
	s_addc_u32 s9, 0, s9                                       // 0000000043C4: 82090980
	v_mfma_f32_16x16x16_bf16 v[48:51], a[110:111], a[78:79], v[48:51]// 0000000043C8: D3E10030 1CC29D6E
	v_mfma_f32_16x16x16_bf16 v[52:55], a[104:105], a[80:81], v[52:55]// 0000000043D0: D3E10034 1CD2A168
	v_mfma_f32_16x16x16_bf16 v[52:55], a[106:107], a[82:83], v[52:55]// 0000000043D8: D3E10034 1CD2A56A
	v_mfma_f32_16x16x16_bf16 v[52:55], a[108:109], a[84:85], v[52:55]// 0000000043E0: D3E10034 1CD2A96C
	v_mfma_f32_16x16x16_bf16 v[52:55], a[110:111], a[86:87], v[52:55]// 0000000043E8: D3E10034 1CD2AD6E
	v_mfma_f32_16x16x16_bf16 v[56:59], a[104:105], a[88:89], v[56:59]// 0000000043F0: D3E10038 1CE2B168
	v_mfma_f32_16x16x16_bf16 v[56:59], a[106:107], a[90:91], v[56:59]// 0000000043F8: D3E10038 1CE2B56A
	v_mfma_f32_16x16x16_bf16 v[56:59], a[108:109], a[92:93], v[56:59]// 000000004400: D3E10038 1CE2B96C
	v_mfma_f32_16x16x16_bf16 v[56:59], a[110:111], a[94:95], v[56:59]// 000000004408: D3E10038 1CE2BD6E
	s_addk_i32 s33, 0x40                                       // 000000004410: B7210040
	s_cmp_lt_i32 s33, s34                                      // 000000004414: BF042221
	s_cbranch_scc0 label_08F8                                  // 000000004418: BF840231
	s_waitcnt vmcnt(14) lgkmcnt(0)                             // 00000000441C: BF8C007E
	s_barrier                                                  // 000000004420: BF8A0000
	v_mfma_f32_16x16x16_bf16 v[36:39], a[112:113], a[0:1], v[36:39]// 000000004424: D3E10024 1C920170
	s_add_u32 m0, 0, s44                                       // 00000000442C: 807C2C80
	buffer_load_dword v19, s[4:7], 0 offen lds                 // 000000004430: E0511000 80010013
	ds_read_b128 a[48:51], v31                                 // 000000004438: DBFE0000 3000001F
	ds_read_b128 a[52:55], v31 offset:64                       // 000000004440: DBFE0040 3400001F
	v_mfma_f32_16x16x16_bf16 v[36:39], a[114:115], a[2:3], v[36:39]// 000000004448: D3E10024 1C920572
	s_add_u32 m0, 0x100, s44                                   // 000000004450: 807C2CFF 00000100
	buffer_load_dword v20, s[4:7], 0 offen lds                 // 000000004458: E0511000 80010014
	v_mfma_f32_16x16x16_bf16 v[36:39], a[116:117], a[4:5], v[36:39]// 000000004460: D3E10024 1C920974
	s_add_u32 m0, 0x200, s44                                   // 000000004468: 807C2CFF 00000200
	buffer_load_dword v21, s[4:7], 0 offen lds                 // 000000004470: E0511000 80010015
	ds_read_b128 a[56:59], v31 offset:512                      // 000000004478: DBFE0200 3800001F
	ds_read_b128 a[60:63], v31 offset:576                      // 000000004480: DBFE0240 3C00001F
	v_mfma_f32_16x16x16_bf16 v[36:39], a[118:119], a[6:7], v[36:39]// 000000004488: D3E10024 1C920D76
	s_add_u32 m0, 0x300, s44                                   // 000000004490: 807C2CFF 00000300
	buffer_load_dword v22, s[4:7], 0 offen lds                 // 000000004498: E0511000 80010016
	v_mfma_f32_16x16x16_bf16 v[40:43], a[112:113], a[8:9], v[40:43]// 0000000044A0: D3E10028 1CA21170
	s_add_u32 m0, 0x400, s44                                   // 0000000044A8: 807C2CFF 00000400
	buffer_load_dword v23, s[4:7], 0 offen lds                 // 0000000044B0: E0511000 80010017
	ds_read_b128 a[64:67], v31 offset:1024                     // 0000000044B8: DBFE0400 4000001F
	ds_read_b128 a[68:71], v31 offset:1088                     // 0000000044C0: DBFE0440 4400001F
	v_mfma_f32_16x16x16_bf16 v[40:43], a[114:115], a[10:11], v[40:43]// 0000000044C8: D3E10028 1CA21572
	s_add_u32 m0, 0x500, s44                                   // 0000000044D0: 807C2CFF 00000500
	buffer_load_dword v24, s[4:7], 0 offen lds                 // 0000000044D8: E0511000 80010018
	v_mfma_f32_16x16x16_bf16 v[40:43], a[116:117], a[12:13], v[40:43]// 0000000044E0: D3E10028 1CA21974
	s_add_u32 m0, 0x600, s44                                   // 0000000044E8: 807C2CFF 00000600
	buffer_load_dword v25, s[4:7], 0 offen lds                 // 0000000044F0: E0511000 80010019
	ds_read_b128 a[72:75], v31 offset:1536                     // 0000000044F8: DBFE0600 4800001F
	ds_read_b128 a[76:79], v31 offset:1600                     // 000000004500: DBFE0640 4C00001F
	v_mfma_f32_16x16x16_bf16 v[40:43], a[118:119], a[14:15], v[40:43]// 000000004508: D3E10028 1CA21D76
	s_add_u32 m0, 0x700, s44                                   // 000000004510: 807C2CFF 00000700
	buffer_load_dword v26, s[4:7], 0 offen lds                 // 000000004518: E0511000 8001001A
	v_mfma_f32_16x16x16_bf16 v[44:47], a[112:113], a[16:17], v[44:47]// 000000004520: D3E1002C 1CB22170
	s_add_u32 m0, 0x800, s44                                   // 000000004528: 807C2CFF 00000800
	buffer_load_dword v27, s[4:7], 0 offen lds                 // 000000004530: E0511000 8001001B
	ds_read_b128 a[80:83], v31 offset:2048                     // 000000004538: DBFE0800 5000001F
	ds_read_b128 a[84:87], v31 offset:2112                     // 000000004540: DBFE0840 5400001F
	v_mfma_f32_16x16x16_bf16 v[44:47], a[114:115], a[18:19], v[44:47]// 000000004548: D3E1002C 1CB22572
	s_add_u32 m0, 0x900, s44                                   // 000000004550: 807C2CFF 00000900
	buffer_load_dword v28, s[4:7], 0 offen lds                 // 000000004558: E0511000 8001001C
	v_mfma_f32_16x16x16_bf16 v[44:47], a[116:117], a[20:21], v[44:47]// 000000004560: D3E1002C 1CB22974
	s_add_u32 m0, 0xa00, s44                                   // 000000004568: 807C2CFF 00000A00
	buffer_load_dword v29, s[4:7], 0 offen lds                 // 000000004570: E0511000 8001001D
	ds_read_b128 a[88:91], v31 offset:2560                     // 000000004578: DBFE0A00 5800001F
	ds_read_b128 a[92:95], v31 offset:2624                     // 000000004580: DBFE0A40 5C00001F
	v_mfma_f32_16x16x16_bf16 v[44:47], a[118:119], a[22:23], v[44:47]// 000000004588: D3E1002C 1CB22D76
	s_add_u32 m0, 0xb00, s44                                   // 000000004590: 807C2CFF 00000B00
	buffer_load_dword v30, s[4:7], 0 offen lds                 // 000000004598: E0511000 8001001E
	v_mfma_f32_16x16x16_bf16 v[48:51], a[112:113], a[24:25], v[48:51]// 0000000045A0: D3E10030 1CC23170
	s_add_u32 s31, 0x100, s33                                  // 0000000045A8: 801F21FF 00000100
	s_cmp_lt_u32 s31, s34                                      // 0000000045B0: BF0A221F
	s_cselect_b32 s40, s40, 0                                  // 0000000045B4: 85288028
	buffer_load_dwordx4 a[104:107], v32, s[8:11], 0 offen      // 0000000045B8: E05C1000 80826820
	s_add_u32 s4, s40, s4                                      // 0000000045C0: 80040428
	s_addc_u32 s5, 0, s5                                       // 0000000045C4: 82050580
	v_mfma_f32_16x16x16_bf16 v[48:51], a[114:115], a[26:27], v[48:51]// 0000000045C8: D3E10030 1CC23572
	buffer_load_dwordx4 a[108:111], v33, s[8:11], 0 offen      // 0000000045D0: E05C1000 80826C21
	v_mfma_f32_16x16x16_bf16 v[48:51], a[116:117], a[28:29], v[48:51]// 0000000045D8: D3E10030 1CC23974
	s_add_u32 s31, 0xc0, s33                                   // 0000000045E0: 801F21FF 000000C0
	s_cmp_lt_u32 s31, s34                                      // 0000000045E8: BF0A221F
	s_cselect_b32 s41, s41, 0                                  // 0000000045EC: 85298029
	s_add_u32 s8, s41, s8                                      // 0000000045F0: 80080829
	s_addc_u32 s9, 0, s9                                       // 0000000045F4: 82090980
	v_mfma_f32_16x16x16_bf16 v[48:51], a[118:119], a[30:31], v[48:51]// 0000000045F8: D3E10030 1CC23D76
	v_mfma_f32_16x16x16_bf16 v[52:55], a[112:113], a[32:33], v[52:55]// 000000004600: D3E10034 1CD24170
	v_mfma_f32_16x16x16_bf16 v[52:55], a[114:115], a[34:35], v[52:55]// 000000004608: D3E10034 1CD24572
	v_mfma_f32_16x16x16_bf16 v[52:55], a[116:117], a[36:37], v[52:55]// 000000004610: D3E10034 1CD24974
	v_mfma_f32_16x16x16_bf16 v[52:55], a[118:119], a[38:39], v[52:55]// 000000004618: D3E10034 1CD24D76
	v_mfma_f32_16x16x16_bf16 v[56:59], a[112:113], a[40:41], v[56:59]// 000000004620: D3E10038 1CE25170
	v_mfma_f32_16x16x16_bf16 v[56:59], a[114:115], a[42:43], v[56:59]// 000000004628: D3E10038 1CE25572
	v_mfma_f32_16x16x16_bf16 v[56:59], a[116:117], a[44:45], v[56:59]// 000000004630: D3E10038 1CE25974
	v_mfma_f32_16x16x16_bf16 v[56:59], a[118:119], a[46:47], v[56:59]// 000000004638: D3E10038 1CE25D76
	s_addk_i32 s33, 0x40                                       // 000000004640: B7210040
	s_cmp_lt_i32 s33, s34                                      // 000000004644: BF042221
	s_cbranch_scc0 label_08F8                                  // 000000004648: BF8401A5
	s_waitcnt vmcnt(14) lgkmcnt(0)                             // 00000000464C: BF8C007E
	s_barrier                                                  // 000000004650: BF8A0000
	v_mfma_f32_16x16x16_bf16 v[36:39], a[96:97], a[48:49], v[36:39]// 000000004654: D3E10024 1C926160
	s_add_u32 m0, 0, s42                                       // 00000000465C: 807C2A80
	buffer_load_dword v19, s[4:7], 0 offen lds                 // 000000004660: E0511000 80010013
	ds_read_b128 a[0:3], v31 offset:12416                      // 000000004668: DBFE3080 0000001F
	ds_read_b128 a[4:7], v31 offset:12480                      // 000000004670: DBFE30C0 0400001F
	v_mfma_f32_16x16x16_bf16 v[36:39], a[98:99], a[50:51], v[36:39]// 000000004678: D3E10024 1C926562
	s_add_u32 m0, 0x100, s42                                   // 000000004680: 807C2AFF 00000100
	buffer_load_dword v20, s[4:7], 0 offen lds                 // 000000004688: E0511000 80010014
	v_mfma_f32_16x16x16_bf16 v[36:39], a[100:101], a[52:53], v[36:39]// 000000004690: D3E10024 1C926964
	s_add_u32 m0, 0x200, s42                                   // 000000004698: 807C2AFF 00000200
	buffer_load_dword v21, s[4:7], 0 offen lds                 // 0000000046A0: E0511000 80010015
	ds_read_b128 a[8:11], v31 offset:12928                     // 0000000046A8: DBFE3280 0800001F
	ds_read_b128 a[12:15], v31 offset:12992                    // 0000000046B0: DBFE32C0 0C00001F
	v_mfma_f32_16x16x16_bf16 v[36:39], a[102:103], a[54:55], v[36:39]// 0000000046B8: D3E10024 1C926D66
	s_add_u32 m0, 0x300, s42                                   // 0000000046C0: 807C2AFF 00000300
	buffer_load_dword v22, s[4:7], 0 offen lds                 // 0000000046C8: E0511000 80010016
	v_mfma_f32_16x16x16_bf16 v[40:43], a[96:97], a[56:57], v[40:43]// 0000000046D0: D3E10028 1CA27160
	s_add_u32 m0, 0x400, s42                                   // 0000000046D8: 807C2AFF 00000400
	buffer_load_dword v23, s[4:7], 0 offen lds                 // 0000000046E0: E0511000 80010017
	ds_read_b128 a[16:19], v31 offset:13440                    // 0000000046E8: DBFE3480 1000001F
	ds_read_b128 a[20:23], v31 offset:13504                    // 0000000046F0: DBFE34C0 1400001F
	v_mfma_f32_16x16x16_bf16 v[40:43], a[98:99], a[58:59], v[40:43]// 0000000046F8: D3E10028 1CA27562
	s_add_u32 m0, 0x500, s42                                   // 000000004700: 807C2AFF 00000500
	buffer_load_dword v24, s[4:7], 0 offen lds                 // 000000004708: E0511000 80010018
	v_mfma_f32_16x16x16_bf16 v[40:43], a[100:101], a[60:61], v[40:43]// 000000004710: D3E10028 1CA27964
	s_add_u32 m0, 0x600, s42                                   // 000000004718: 807C2AFF 00000600
	buffer_load_dword v25, s[4:7], 0 offen lds                 // 000000004720: E0511000 80010019
	ds_read_b128 a[24:27], v31 offset:13952                    // 000000004728: DBFE3680 1800001F
	ds_read_b128 a[28:31], v31 offset:14016                    // 000000004730: DBFE36C0 1C00001F
	v_mfma_f32_16x16x16_bf16 v[40:43], a[102:103], a[62:63], v[40:43]// 000000004738: D3E10028 1CA27D66
	s_add_u32 m0, 0x700, s42                                   // 000000004740: 807C2AFF 00000700
	buffer_load_dword v26, s[4:7], 0 offen lds                 // 000000004748: E0511000 8001001A
	v_mfma_f32_16x16x16_bf16 v[44:47], a[96:97], a[64:65], v[44:47]// 000000004750: D3E1002C 1CB28160
	s_add_u32 m0, 0x800, s42                                   // 000000004758: 807C2AFF 00000800
	buffer_load_dword v27, s[4:7], 0 offen lds                 // 000000004760: E0511000 8001001B
	ds_read_b128 a[32:35], v31 offset:14464                    // 000000004768: DBFE3880 2000001F
	ds_read_b128 a[36:39], v31 offset:14528                    // 000000004770: DBFE38C0 2400001F
	v_mfma_f32_16x16x16_bf16 v[44:47], a[98:99], a[66:67], v[44:47]// 000000004778: D3E1002C 1CB28562
	s_add_u32 m0, 0x900, s42                                   // 000000004780: 807C2AFF 00000900
	buffer_load_dword v28, s[4:7], 0 offen lds                 // 000000004788: E0511000 8001001C
	v_mfma_f32_16x16x16_bf16 v[44:47], a[100:101], a[68:69], v[44:47]// 000000004790: D3E1002C 1CB28964
	s_add_u32 m0, 0xa00, s42                                   // 000000004798: 807C2AFF 00000A00
	buffer_load_dword v29, s[4:7], 0 offen lds                 // 0000000047A0: E0511000 8001001D
	ds_read_b128 a[40:43], v31 offset:14976                    // 0000000047A8: DBFE3A80 2800001F
	ds_read_b128 a[44:47], v31 offset:15040                    // 0000000047B0: DBFE3AC0 2C00001F
	v_mfma_f32_16x16x16_bf16 v[44:47], a[102:103], a[70:71], v[44:47]// 0000000047B8: D3E1002C 1CB28D66
	s_add_u32 m0, 0xb00, s42                                   // 0000000047C0: 807C2AFF 00000B00
	buffer_load_dword v30, s[4:7], 0 offen lds                 // 0000000047C8: E0511000 8001001E
	v_mfma_f32_16x16x16_bf16 v[48:51], a[96:97], a[72:73], v[48:51]// 0000000047D0: D3E10030 1CC29160
	s_add_u32 s31, 0x100, s33                                  // 0000000047D8: 801F21FF 00000100
	s_cmp_lt_u32 s31, s34                                      // 0000000047E0: BF0A221F
	s_cselect_b32 s40, s40, 0                                  // 0000000047E4: 85288028
	buffer_load_dwordx4 a[112:115], v32, s[8:11], 0 offen      // 0000000047E8: E05C1000 80827020
	s_add_u32 s4, s40, s4                                      // 0000000047F0: 80040428
	s_addc_u32 s5, 0, s5                                       // 0000000047F4: 82050580
	v_mfma_f32_16x16x16_bf16 v[48:51], a[98:99], a[74:75], v[48:51]// 0000000047F8: D3E10030 1CC29562
	buffer_load_dwordx4 a[116:119], v33, s[8:11], 0 offen      // 000000004800: E05C1000 80827421
	v_mfma_f32_16x16x16_bf16 v[48:51], a[100:101], a[76:77], v[48:51]// 000000004808: D3E10030 1CC29964
	s_add_u32 s31, 0xc0, s33                                   // 000000004810: 801F21FF 000000C0
	s_cmp_lt_u32 s31, s34                                      // 000000004818: BF0A221F
	s_cselect_b32 s41, s41, 0                                  // 00000000481C: 85298029
	s_add_u32 s8, s41, s8                                      // 000000004820: 80080829
	s_addc_u32 s9, 0, s9                                       // 000000004824: 82090980
	v_mfma_f32_16x16x16_bf16 v[48:51], a[102:103], a[78:79], v[48:51]// 000000004828: D3E10030 1CC29D66
	v_mfma_f32_16x16x16_bf16 v[52:55], a[96:97], a[80:81], v[52:55]// 000000004830: D3E10034 1CD2A160
	v_mfma_f32_16x16x16_bf16 v[52:55], a[98:99], a[82:83], v[52:55]// 000000004838: D3E10034 1CD2A562
	v_mfma_f32_16x16x16_bf16 v[52:55], a[100:101], a[84:85], v[52:55]// 000000004840: D3E10034 1CD2A964
	v_mfma_f32_16x16x16_bf16 v[52:55], a[102:103], a[86:87], v[52:55]// 000000004848: D3E10034 1CD2AD66
	v_mfma_f32_16x16x16_bf16 v[56:59], a[96:97], a[88:89], v[56:59]// 000000004850: D3E10038 1CE2B160
	v_mfma_f32_16x16x16_bf16 v[56:59], a[98:99], a[90:91], v[56:59]// 000000004858: D3E10038 1CE2B562
	v_mfma_f32_16x16x16_bf16 v[56:59], a[100:101], a[92:93], v[56:59]// 000000004860: D3E10038 1CE2B964
	v_mfma_f32_16x16x16_bf16 v[56:59], a[102:103], a[94:95], v[56:59]// 000000004868: D3E10038 1CE2BD66
	s_addk_i32 s33, 0x40                                       // 000000004870: B7210040
	s_cmp_lt_i32 s33, s34                                      // 000000004874: BF042221
	s_cbranch_scc0 label_08F8                                  // 000000004878: BF840119
	s_waitcnt vmcnt(14) lgkmcnt(0)                             // 00000000487C: BF8C007E
	s_barrier                                                  // 000000004880: BF8A0000
	v_mfma_f32_16x16x16_bf16 v[36:39], a[104:105], a[0:1], v[36:39]// 000000004884: D3E10024 1C920168
	s_add_u32 m0, 0, s43                                       // 00000000488C: 807C2B80
	buffer_load_dword v19, s[4:7], 0 offen lds                 // 000000004890: E0511000 80010013
	ds_read_b128 a[48:51], v31 offset:24832                    // 000000004898: DBFE6100 3000001F
	ds_read_b128 a[52:55], v31 offset:24896                    // 0000000048A0: DBFE6140 3400001F
	v_mfma_f32_16x16x16_bf16 v[36:39], a[106:107], a[2:3], v[36:39]// 0000000048A8: D3E10024 1C92056A
	s_add_u32 m0, 0x100, s43                                   // 0000000048B0: 807C2BFF 00000100
	buffer_load_dword v20, s[4:7], 0 offen lds                 // 0000000048B8: E0511000 80010014
	v_mfma_f32_16x16x16_bf16 v[36:39], a[108:109], a[4:5], v[36:39]// 0000000048C0: D3E10024 1C92096C
	s_add_u32 m0, 0x200, s43                                   // 0000000048C8: 807C2BFF 00000200
	buffer_load_dword v21, s[4:7], 0 offen lds                 // 0000000048D0: E0511000 80010015
	ds_read_b128 a[56:59], v31 offset:25344                    // 0000000048D8: DBFE6300 3800001F
	ds_read_b128 a[60:63], v31 offset:25408                    // 0000000048E0: DBFE6340 3C00001F
	v_mfma_f32_16x16x16_bf16 v[36:39], a[110:111], a[6:7], v[36:39]// 0000000048E8: D3E10024 1C920D6E
	s_add_u32 m0, 0x300, s43                                   // 0000000048F0: 807C2BFF 00000300
	buffer_load_dword v22, s[4:7], 0 offen lds                 // 0000000048F8: E0511000 80010016
	v_mfma_f32_16x16x16_bf16 v[40:43], a[104:105], a[8:9], v[40:43]// 000000004900: D3E10028 1CA21168
	s_add_u32 m0, 0x400, s43                                   // 000000004908: 807C2BFF 00000400
	buffer_load_dword v23, s[4:7], 0 offen lds                 // 000000004910: E0511000 80010017
	ds_read_b128 a[64:67], v31 offset:25856                    // 000000004918: DBFE6500 4000001F
	ds_read_b128 a[68:71], v31 offset:25920                    // 000000004920: DBFE6540 4400001F
	v_mfma_f32_16x16x16_bf16 v[40:43], a[106:107], a[10:11], v[40:43]// 000000004928: D3E10028 1CA2156A
	s_add_u32 m0, 0x500, s43                                   // 000000004930: 807C2BFF 00000500
	buffer_load_dword v24, s[4:7], 0 offen lds                 // 000000004938: E0511000 80010018
	v_mfma_f32_16x16x16_bf16 v[40:43], a[108:109], a[12:13], v[40:43]// 000000004940: D3E10028 1CA2196C
	s_add_u32 m0, 0x600, s43                                   // 000000004948: 807C2BFF 00000600
	buffer_load_dword v25, s[4:7], 0 offen lds                 // 000000004950: E0511000 80010019
	ds_read_b128 a[72:75], v31 offset:26368                    // 000000004958: DBFE6700 4800001F
	ds_read_b128 a[76:79], v31 offset:26432                    // 000000004960: DBFE6740 4C00001F
	v_mfma_f32_16x16x16_bf16 v[40:43], a[110:111], a[14:15], v[40:43]// 000000004968: D3E10028 1CA21D6E
	s_add_u32 m0, 0x700, s43                                   // 000000004970: 807C2BFF 00000700
	buffer_load_dword v26, s[4:7], 0 offen lds                 // 000000004978: E0511000 8001001A
	v_mfma_f32_16x16x16_bf16 v[44:47], a[104:105], a[16:17], v[44:47]// 000000004980: D3E1002C 1CB22168
	s_add_u32 m0, 0x800, s43                                   // 000000004988: 807C2BFF 00000800
	buffer_load_dword v27, s[4:7], 0 offen lds                 // 000000004990: E0511000 8001001B
	ds_read_b128 a[80:83], v31 offset:26880                    // 000000004998: DBFE6900 5000001F
	ds_read_b128 a[84:87], v31 offset:26944                    // 0000000049A0: DBFE6940 5400001F
	v_mfma_f32_16x16x16_bf16 v[44:47], a[106:107], a[18:19], v[44:47]// 0000000049A8: D3E1002C 1CB2256A
	s_add_u32 m0, 0x900, s43                                   // 0000000049B0: 807C2BFF 00000900
	buffer_load_dword v28, s[4:7], 0 offen lds                 // 0000000049B8: E0511000 8001001C
	v_mfma_f32_16x16x16_bf16 v[44:47], a[108:109], a[20:21], v[44:47]// 0000000049C0: D3E1002C 1CB2296C
	s_add_u32 m0, 0xa00, s43                                   // 0000000049C8: 807C2BFF 00000A00
	buffer_load_dword v29, s[4:7], 0 offen lds                 // 0000000049D0: E0511000 8001001D
	ds_read_b128 a[88:91], v31 offset:27392                    // 0000000049D8: DBFE6B00 5800001F
	ds_read_b128 a[92:95], v31 offset:27456                    // 0000000049E0: DBFE6B40 5C00001F
	v_mfma_f32_16x16x16_bf16 v[44:47], a[110:111], a[22:23], v[44:47]// 0000000049E8: D3E1002C 1CB22D6E
	s_add_u32 m0, 0xb00, s43                                   // 0000000049F0: 807C2BFF 00000B00
	buffer_load_dword v30, s[4:7], 0 offen lds                 // 0000000049F8: E0511000 8001001E
	v_mfma_f32_16x16x16_bf16 v[48:51], a[104:105], a[24:25], v[48:51]// 000000004A00: D3E10030 1CC23168
	s_add_u32 s31, 0x100, s33                                  // 000000004A08: 801F21FF 00000100
	s_cmp_lt_u32 s31, s34                                      // 000000004A10: BF0A221F
	s_cselect_b32 s40, s40, 0                                  // 000000004A14: 85288028
	buffer_load_dwordx4 a[96:99], v32, s[8:11], 0 offen        // 000000004A18: E05C1000 80826020
	s_add_u32 s4, s40, s4                                      // 000000004A20: 80040428
	s_addc_u32 s5, 0, s5                                       // 000000004A24: 82050580
	v_mfma_f32_16x16x16_bf16 v[48:51], a[106:107], a[26:27], v[48:51]// 000000004A28: D3E10030 1CC2356A
	buffer_load_dwordx4 a[100:103], v33, s[8:11], 0 offen      // 000000004A30: E05C1000 80826421
	v_mfma_f32_16x16x16_bf16 v[48:51], a[108:109], a[28:29], v[48:51]// 000000004A38: D3E10030 1CC2396C
	s_add_u32 s31, 0xc0, s33                                   // 000000004A40: 801F21FF 000000C0
	s_cmp_lt_u32 s31, s34                                      // 000000004A48: BF0A221F
	s_cselect_b32 s41, s41, 0                                  // 000000004A4C: 85298029
	s_add_u32 s8, s41, s8                                      // 000000004A50: 80080829
	s_addc_u32 s9, 0, s9                                       // 000000004A54: 82090980
	v_mfma_f32_16x16x16_bf16 v[48:51], a[110:111], a[30:31], v[48:51]// 000000004A58: D3E10030 1CC23D6E
	v_mfma_f32_16x16x16_bf16 v[52:55], a[104:105], a[32:33], v[52:55]// 000000004A60: D3E10034 1CD24168
	v_mfma_f32_16x16x16_bf16 v[52:55], a[106:107], a[34:35], v[52:55]// 000000004A68: D3E10034 1CD2456A
	v_mfma_f32_16x16x16_bf16 v[52:55], a[108:109], a[36:37], v[52:55]// 000000004A70: D3E10034 1CD2496C
	v_mfma_f32_16x16x16_bf16 v[52:55], a[110:111], a[38:39], v[52:55]// 000000004A78: D3E10034 1CD24D6E
	v_mfma_f32_16x16x16_bf16 v[56:59], a[104:105], a[40:41], v[56:59]// 000000004A80: D3E10038 1CE25168
	v_mfma_f32_16x16x16_bf16 v[56:59], a[106:107], a[42:43], v[56:59]// 000000004A88: D3E10038 1CE2556A
	v_mfma_f32_16x16x16_bf16 v[56:59], a[108:109], a[44:45], v[56:59]// 000000004A90: D3E10038 1CE2596C
	v_mfma_f32_16x16x16_bf16 v[56:59], a[110:111], a[46:47], v[56:59]// 000000004A98: D3E10038 1CE25D6E
	s_addk_i32 s33, 0x40                                       // 000000004AA0: B7210040
	s_cmp_lt_i32 s33, s34                                      // 000000004AA4: BF042221
	s_cbranch_scc0 label_08F8                                  // 000000004AA8: BF84008D
	s_waitcnt vmcnt(14) lgkmcnt(0)                             // 000000004AAC: BF8C007E
	s_barrier                                                  // 000000004AB0: BF8A0000
	v_mfma_f32_16x16x16_bf16 v[36:39], a[112:113], a[48:49], v[36:39]// 000000004AB4: D3E10024 1C926170
	s_add_u32 m0, 0, s44                                       // 000000004ABC: 807C2C80
	buffer_load_dword v19, s[4:7], 0 offen lds                 // 000000004AC0: E0511000 80010013
	ds_read_b128 a[0:3], v31                                   // 000000004AC8: DBFE0000 0000001F
	ds_read_b128 a[4:7], v31 offset:64                         // 000000004AD0: DBFE0040 0400001F
	v_mfma_f32_16x16x16_bf16 v[36:39], a[114:115], a[50:51], v[36:39]// 000000004AD8: D3E10024 1C926572
	s_add_u32 m0, 0x100, s44                                   // 000000004AE0: 807C2CFF 00000100
	buffer_load_dword v20, s[4:7], 0 offen lds                 // 000000004AE8: E0511000 80010014
	v_mfma_f32_16x16x16_bf16 v[36:39], a[116:117], a[52:53], v[36:39]// 000000004AF0: D3E10024 1C926974
	s_add_u32 m0, 0x200, s44                                   // 000000004AF8: 807C2CFF 00000200
	buffer_load_dword v21, s[4:7], 0 offen lds                 // 000000004B00: E0511000 80010015
	ds_read_b128 a[8:11], v31 offset:512                       // 000000004B08: DBFE0200 0800001F
	ds_read_b128 a[12:15], v31 offset:576                      // 000000004B10: DBFE0240 0C00001F
	v_mfma_f32_16x16x16_bf16 v[36:39], a[118:119], a[54:55], v[36:39]// 000000004B18: D3E10024 1C926D76
	s_add_u32 m0, 0x300, s44                                   // 000000004B20: 807C2CFF 00000300
	buffer_load_dword v22, s[4:7], 0 offen lds                 // 000000004B28: E0511000 80010016
	v_mfma_f32_16x16x16_bf16 v[40:43], a[112:113], a[56:57], v[40:43]// 000000004B30: D3E10028 1CA27170
	s_add_u32 m0, 0x400, s44                                   // 000000004B38: 807C2CFF 00000400
	buffer_load_dword v23, s[4:7], 0 offen lds                 // 000000004B40: E0511000 80010017
	ds_read_b128 a[16:19], v31 offset:1024                     // 000000004B48: DBFE0400 1000001F
	ds_read_b128 a[20:23], v31 offset:1088                     // 000000004B50: DBFE0440 1400001F
	v_mfma_f32_16x16x16_bf16 v[40:43], a[114:115], a[58:59], v[40:43]// 000000004B58: D3E10028 1CA27572
	s_add_u32 m0, 0x500, s44                                   // 000000004B60: 807C2CFF 00000500
	buffer_load_dword v24, s[4:7], 0 offen lds                 // 000000004B68: E0511000 80010018
	v_mfma_f32_16x16x16_bf16 v[40:43], a[116:117], a[60:61], v[40:43]// 000000004B70: D3E10028 1CA27974
	s_add_u32 m0, 0x600, s44                                   // 000000004B78: 807C2CFF 00000600
	buffer_load_dword v25, s[4:7], 0 offen lds                 // 000000004B80: E0511000 80010019
	ds_read_b128 a[24:27], v31 offset:1536                     // 000000004B88: DBFE0600 1800001F
	ds_read_b128 a[28:31], v31 offset:1600                     // 000000004B90: DBFE0640 1C00001F
	v_mfma_f32_16x16x16_bf16 v[40:43], a[118:119], a[62:63], v[40:43]// 000000004B98: D3E10028 1CA27D76
	s_add_u32 m0, 0x700, s44                                   // 000000004BA0: 807C2CFF 00000700
	buffer_load_dword v26, s[4:7], 0 offen lds                 // 000000004BA8: E0511000 8001001A
	v_mfma_f32_16x16x16_bf16 v[44:47], a[112:113], a[64:65], v[44:47]// 000000004BB0: D3E1002C 1CB28170
	s_add_u32 m0, 0x800, s44                                   // 000000004BB8: 807C2CFF 00000800
	buffer_load_dword v27, s[4:7], 0 offen lds                 // 000000004BC0: E0511000 8001001B
	ds_read_b128 a[32:35], v31 offset:2048                     // 000000004BC8: DBFE0800 2000001F
	ds_read_b128 a[36:39], v31 offset:2112                     // 000000004BD0: DBFE0840 2400001F
	v_mfma_f32_16x16x16_bf16 v[44:47], a[114:115], a[66:67], v[44:47]// 000000004BD8: D3E1002C 1CB28572
	s_add_u32 m0, 0x900, s44                                   // 000000004BE0: 807C2CFF 00000900
	buffer_load_dword v28, s[4:7], 0 offen lds                 // 000000004BE8: E0511000 8001001C
	v_mfma_f32_16x16x16_bf16 v[44:47], a[116:117], a[68:69], v[44:47]// 000000004BF0: D3E1002C 1CB28974
	s_add_u32 m0, 0xa00, s44                                   // 000000004BF8: 807C2CFF 00000A00
	buffer_load_dword v29, s[4:7], 0 offen lds                 // 000000004C00: E0511000 8001001D
	ds_read_b128 a[40:43], v31 offset:2560                     // 000000004C08: DBFE0A00 2800001F
	ds_read_b128 a[44:47], v31 offset:2624                     // 000000004C10: DBFE0A40 2C00001F
	v_mfma_f32_16x16x16_bf16 v[44:47], a[118:119], a[70:71], v[44:47]// 000000004C18: D3E1002C 1CB28D76
	s_add_u32 m0, 0xb00, s44                                   // 000000004C20: 807C2CFF 00000B00
	buffer_load_dword v30, s[4:7], 0 offen lds                 // 000000004C28: E0511000 8001001E
	v_mfma_f32_16x16x16_bf16 v[48:51], a[112:113], a[72:73], v[48:51]// 000000004C30: D3E10030 1CC29170
	s_add_u32 s31, 0x100, s33                                  // 000000004C38: 801F21FF 00000100
	s_cmp_lt_u32 s31, s34                                      // 000000004C40: BF0A221F
	s_cselect_b32 s40, s40, 0                                  // 000000004C44: 85288028
	buffer_load_dwordx4 a[104:107], v32, s[8:11], 0 offen      // 000000004C48: E05C1000 80826820
	s_add_u32 s4, s40, s4                                      // 000000004C50: 80040428
	s_addc_u32 s5, 0, s5                                       // 000000004C54: 82050580
	v_mfma_f32_16x16x16_bf16 v[48:51], a[114:115], a[74:75], v[48:51]// 000000004C58: D3E10030 1CC29572
	buffer_load_dwordx4 a[108:111], v33, s[8:11], 0 offen      // 000000004C60: E05C1000 80826C21
	v_mfma_f32_16x16x16_bf16 v[48:51], a[116:117], a[76:77], v[48:51]// 000000004C68: D3E10030 1CC29974
	s_add_u32 s31, 0xc0, s33                                   // 000000004C70: 801F21FF 000000C0
	s_cmp_lt_u32 s31, s34                                      // 000000004C78: BF0A221F
	s_cselect_b32 s41, s41, 0                                  // 000000004C7C: 85298029
	s_add_u32 s8, s41, s8                                      // 000000004C80: 80080829
	s_addc_u32 s9, 0, s9                                       // 000000004C84: 82090980
	v_mfma_f32_16x16x16_bf16 v[48:51], a[118:119], a[78:79], v[48:51]// 000000004C88: D3E10030 1CC29D76
	v_mfma_f32_16x16x16_bf16 v[52:55], a[112:113], a[80:81], v[52:55]// 000000004C90: D3E10034 1CD2A170
	v_mfma_f32_16x16x16_bf16 v[52:55], a[114:115], a[82:83], v[52:55]// 000000004C98: D3E10034 1CD2A572
	v_mfma_f32_16x16x16_bf16 v[52:55], a[116:117], a[84:85], v[52:55]// 000000004CA0: D3E10034 1CD2A974
	v_mfma_f32_16x16x16_bf16 v[52:55], a[118:119], a[86:87], v[52:55]// 000000004CA8: D3E10034 1CD2AD76
	v_mfma_f32_16x16x16_bf16 v[56:59], a[112:113], a[88:89], v[56:59]// 000000004CB0: D3E10038 1CE2B170
	v_mfma_f32_16x16x16_bf16 v[56:59], a[114:115], a[90:91], v[56:59]// 000000004CB8: D3E10038 1CE2B572
	v_mfma_f32_16x16x16_bf16 v[56:59], a[116:117], a[92:93], v[56:59]// 000000004CC0: D3E10038 1CE2B974
	v_mfma_f32_16x16x16_bf16 v[56:59], a[118:119], a[94:95], v[56:59]// 000000004CC8: D3E10038 1CE2BD76
	s_addk_i32 s33, 0x40                                       // 000000004CD0: B7210040
	s_cmp_lt_i32 s33, s34                                      // 000000004CD4: BF042221
	s_cbranch_scc0 label_08F8                                  // 000000004CD8: BF840001
	s_branch label_05AF                                        // 000000004CDC: BF82FCB7

0000000000004ce0 <label_08F8>:
	s_cmp_le_u32 s48, 1                                        // 000000004CE0: BF0B8130
	s_cbranch_scc1 label_0DC8                                  // 000000004CE4: BF8504CE
	s_mov_b32 s31, 0x60                                        // 000000004CE8: BE9F00FF 00000060
	s_cmp_lt_u32 s51, s31                                      // 000000004CF0: BF0A1F33
	s_cbranch_scc1 label_0AD3                                  // 000000004CF4: BF8501D5
	v_mov_b32_e32 v5, 0                                        // 000000004CF8: 7E0A0280
	s_and_b32 s17, s17, 0xffff                                 // 000000004CFC: 8611FF11 0000FFFF
	s_cmp_lt_u32 s50, 1                                        // 000000004D04: BF0A8132
	s_cbranch_scc0 label_09BA                                  // 000000004D08: BF8400B7
	v_lshrrev_b32_e32 v4, 4, v0                                // 000000004D0C: 20080084
	v_mul_u32_u24_e32 v31, 0x44, v4                            // 000000004D10: 103E08FF 00000044
	v_and_b32_e32 v4, 15, v0                                   // 000000004D18: 2608008F
	v_mul_lo_u32 v5, 4, v4                                     // 000000004D1C: D2850005 00020884
	v_add_u32_e32 v31, v5, v31                                 // 000000004D24: 683E3F05
	s_mul_i32 s31, s24, 0x110                                  // 000000004D28: 921FFF18 00000110
	v_add_u32_e32 v31, s31, v31                                // 000000004D30: 683E3E1F
	v_lshlrev_b32_e32 v31, 2, v31                              // 000000004D34: 243E3E82
	v_lshrrev_b32_e32 v4, 2, v0                                // 000000004D38: 20080082
	v_mul_u32_u24_e32 v34, 0x44, v4                            // 000000004D3C: 104408FF 00000044
	v_and_b32_e32 v4, 3, v0                                    // 000000004D44: 26080083
	v_add_u32_e32 v34, v4, v34                                 // 000000004D48: 68444504
	s_mul_i32 s31, s24, 4                                      // 000000004D4C: 921F8418
	v_add_u32_e32 v34, s31, v34                                // 000000004D50: 6844441F
	v_lshlrev_b32_e32 v34, 2, v34                              // 000000004D54: 24444482
	s_waitcnt vmcnt(0) expcnt(0) lgkmcnt(0)                    // 000000004D58: BF8C0000
	s_barrier                                                  // 000000004D5C: BF8A0000
	ds_write_b128 v31, v[36:39]                                // 000000004D60: D9BE0000 0000241F
	ds_write_b128 v31, v[40:43] offset:4352                    // 000000004D68: D9BE1100 0000281F
	ds_write_b128 v31, v[44:47] offset:8704                    // 000000004D70: D9BE2200 00002C1F
	ds_write_b128 v31, v[48:51] offset:13056                   // 000000004D78: D9BE3300 0000301F
	ds_write_b128 v31, v[52:55] offset:17408                   // 000000004D80: D9BE4400 0000341F
	ds_write_b128 v31, v[56:59] offset:21760                   // 000000004D88: D9BE5500 0000381F
	s_waitcnt lgkmcnt(0)                                       // 000000004D90: BF8CC07F
	s_barrier                                                  // 000000004D94: BF8A0000
	ds_read_b32 v36, v34                                       // 000000004D98: D86C0000 24000022
	ds_read_b32 v37, v34 offset:64                             // 000000004DA0: D86C0040 25000022
	ds_read_b32 v38, v34 offset:128                            // 000000004DA8: D86C0080 26000022
	ds_read_b32 v39, v34 offset:192                            // 000000004DB0: D86C00C0 27000022
	ds_read_b32 v40, v34 offset:4352                           // 000000004DB8: D86C1100 28000022
	ds_read_b32 v41, v34 offset:4416                           // 000000004DC0: D86C1140 29000022
	ds_read_b32 v42, v34 offset:4480                           // 000000004DC8: D86C1180 2A000022
	ds_read_b32 v43, v34 offset:4544                           // 000000004DD0: D86C11C0 2B000022
	ds_read_b32 v44, v34 offset:8704                           // 000000004DD8: D86C2200 2C000022
	ds_read_b32 v45, v34 offset:8768                           // 000000004DE0: D86C2240 2D000022
	ds_read_b32 v46, v34 offset:8832                           // 000000004DE8: D86C2280 2E000022
	ds_read_b32 v47, v34 offset:8896                           // 000000004DF0: D86C22C0 2F000022
	ds_read_b32 v48, v34 offset:13056                          // 000000004DF8: D86C3300 30000022
	ds_read_b32 v49, v34 offset:13120                          // 000000004E00: D86C3340 31000022
	ds_read_b32 v50, v34 offset:13184                          // 000000004E08: D86C3380 32000022
	ds_read_b32 v51, v34 offset:13248                          // 000000004E10: D86C33C0 33000022
	ds_read_b32 v52, v34 offset:17408                          // 000000004E18: D86C4400 34000022
	ds_read_b32 v53, v34 offset:17472                          // 000000004E20: D86C4440 35000022
	ds_read_b32 v54, v34 offset:17536                          // 000000004E28: D86C4480 36000022
	ds_read_b32 v55, v34 offset:17600                          // 000000004E30: D86C44C0 37000022
	ds_read_b32 v56, v34 offset:21760                          // 000000004E38: D86C5500 38000022
	ds_read_b32 v57, v34 offset:21824                          // 000000004E40: D86C5540 39000022
	ds_read_b32 v58, v34 offset:21888                          // 000000004E48: D86C5580 3A000022
	ds_read_b32 v59, v34 offset:21952                          // 000000004E50: D86C55C0 3B000022
	s_waitcnt lgkmcnt(0)                                       // 000000004E58: BF8CC07F
	s_mul_i32 s31, s30, 4                                      // 000000004E5C: 921F841E
	v_mov_b32_e32 v4, v18                                      // 000000004E60: 7E080312
	global_atomic_add_f32 v4, v36, s[16:17]                    // 000000004E64: DD348000 00102404
	v_add_u32_e64 v4, v4, s31                                  // 000000004E6C: D1340004 00003F04
	global_atomic_add_f32 v4, v37, s[16:17]                    // 000000004E74: DD348000 00102504
	v_add_u32_e64 v4, v4, s31                                  // 000000004E7C: D1340004 00003F04
	global_atomic_add_f32 v4, v38, s[16:17]                    // 000000004E84: DD348000 00102604
	v_add_u32_e64 v4, v4, s31                                  // 000000004E8C: D1340004 00003F04
	global_atomic_add_f32 v4, v39, s[16:17]                    // 000000004E94: DD348000 00102704
	v_add_u32_e64 v4, v4, s31                                  // 000000004E9C: D1340004 00003F04
	global_atomic_add_f32 v4, v40, s[16:17]                    // 000000004EA4: DD348000 00102804
	v_add_u32_e64 v4, v4, s31                                  // 000000004EAC: D1340004 00003F04
	global_atomic_add_f32 v4, v41, s[16:17]                    // 000000004EB4: DD348000 00102904
	v_add_u32_e64 v4, v4, s31                                  // 000000004EBC: D1340004 00003F04
	global_atomic_add_f32 v4, v42, s[16:17]                    // 000000004EC4: DD348000 00102A04
	v_add_u32_e64 v4, v4, s31                                  // 000000004ECC: D1340004 00003F04
	global_atomic_add_f32 v4, v43, s[16:17]                    // 000000004ED4: DD348000 00102B04
	v_add_u32_e64 v4, v4, s31                                  // 000000004EDC: D1340004 00003F04
	global_atomic_add_f32 v4, v44, s[16:17]                    // 000000004EE4: DD348000 00102C04
	v_add_u32_e64 v4, v4, s31                                  // 000000004EEC: D1340004 00003F04
	global_atomic_add_f32 v4, v45, s[16:17]                    // 000000004EF4: DD348000 00102D04
	v_add_u32_e64 v4, v4, s31                                  // 000000004EFC: D1340004 00003F04
	global_atomic_add_f32 v4, v46, s[16:17]                    // 000000004F04: DD348000 00102E04
	v_add_u32_e64 v4, v4, s31                                  // 000000004F0C: D1340004 00003F04
	global_atomic_add_f32 v4, v47, s[16:17]                    // 000000004F14: DD348000 00102F04
	v_add_u32_e64 v4, v4, s31                                  // 000000004F1C: D1340004 00003F04
	global_atomic_add_f32 v4, v48, s[16:17]                    // 000000004F24: DD348000 00103004
	v_add_u32_e64 v4, v4, s31                                  // 000000004F2C: D1340004 00003F04
	global_atomic_add_f32 v4, v49, s[16:17]                    // 000000004F34: DD348000 00103104
	v_add_u32_e64 v4, v4, s31                                  // 000000004F3C: D1340004 00003F04
	global_atomic_add_f32 v4, v50, s[16:17]                    // 000000004F44: DD348000 00103204
	v_add_u32_e64 v4, v4, s31                                  // 000000004F4C: D1340004 00003F04
	global_atomic_add_f32 v4, v51, s[16:17]                    // 000000004F54: DD348000 00103304
	v_add_u32_e64 v4, v4, s31                                  // 000000004F5C: D1340004 00003F04
	global_atomic_add_f32 v4, v52, s[16:17]                    // 000000004F64: DD348000 00103404
	v_add_u32_e64 v4, v4, s31                                  // 000000004F6C: D1340004 00003F04
	global_atomic_add_f32 v4, v53, s[16:17]                    // 000000004F74: DD348000 00103504
	v_add_u32_e64 v4, v4, s31                                  // 000000004F7C: D1340004 00003F04
	global_atomic_add_f32 v4, v54, s[16:17]                    // 000000004F84: DD348000 00103604
	v_add_u32_e64 v4, v4, s31                                  // 000000004F8C: D1340004 00003F04
	global_atomic_add_f32 v4, v55, s[16:17]                    // 000000004F94: DD348000 00103704
	v_add_u32_e64 v4, v4, s31                                  // 000000004F9C: D1340004 00003F04
	global_atomic_add_f32 v4, v56, s[16:17]                    // 000000004FA4: DD348000 00103804
	v_add_u32_e64 v4, v4, s31                                  // 000000004FAC: D1340004 00003F04
	global_atomic_add_f32 v4, v57, s[16:17]                    // 000000004FB4: DD348000 00103904
	v_add_u32_e64 v4, v4, s31                                  // 000000004FBC: D1340004 00003F04
	global_atomic_add_f32 v4, v58, s[16:17]                    // 000000004FC4: DD348000 00103A04
	v_add_u32_e64 v4, v4, s31                                  // 000000004FCC: D1340004 00003F04
	global_atomic_add_f32 v4, v59, s[16:17]                    // 000000004FD4: DD348000 00103B04
	v_add_u32_e64 v4, v4, s31                                  // 000000004FDC: D1340004 00003F04
	s_branch label_0E8B                                        // 000000004FE4: BF8204D1

0000000000004fe8 <label_09BA>:
	v_lshrrev_b32_e32 v4, 4, v0                                // 000000004FE8: 20080084
	v_mul_u32_u24_e32 v31, 34, v4                              // 000000004FEC: 103E08A2
	v_and_b32_e32 v4, 15, v0                                   // 000000004FF0: 2608008F
	v_mul_lo_u32 v5, 2, v4                                     // 000000004FF4: D2850005 00020882
	v_add_u32_e32 v31, v5, v31                                 // 000000004FFC: 683E3F05
	s_mul_i32 s31, s24, 0x88                                   // 000000005000: 921FFF18 00000088
	v_add_u32_e32 v31, s31, v31                                // 000000005008: 683E3E1F
	v_lshlrev_b32_e32 v31, 2, v31                              // 00000000500C: 243E3E82
	v_and_b32_e32 v4, 31, v0                                   // 000000005010: 2608009F
	v_lshrrev_b32_e32 v5, 1, v4                                // 000000005014: 200A0881
	v_mul_u32_u24_e32 v34, 34, v5                              // 000000005018: 10440AA2
	v_and_b32_e32 v5, 1, v4                                    // 00000000501C: 260A0881
	v_add_u32_e32 v34, v5, v34                                 // 000000005020: 68444505
	v_lshrrev_b32_e32 v4, 5, v0                                // 000000005024: 20080085
	v_mul_u32_u24_e32 v4, 8, v4                                // 000000005028: 10080888
	v_add_u32_e32 v34, v4, v34                                 // 00000000502C: 68444504
	s_mul_i32 s31, s24, 2                                      // 000000005030: 921F8218
	v_add_u32_e32 v34, s31, v34                                // 000000005034: 6844441F
	v_lshlrev_b32_e32 v34, 2, v34                              // 000000005038: 24444482
	s_waitcnt vmcnt(0) expcnt(0) lgkmcnt(0)                    // 00000000503C: BF8C0000
	s_barrier                                                  // 000000005040: BF8A0000
	v_cmp_u_f32_e64 s[56:57], v36, v36                         // 000000005044: D0480038 00024924
	v_add3_u32 v8, v36, v11, 1                                 // 00000000504C: D1FF0008 02061724
	v_cndmask_b32_e64 v4, v8, v10, s[56:57]                    // 000000005054: D1000004 00E21508
	v_cmp_u_f32_e64 s[56:57], v37, v37                         // 00000000505C: D0480038 00024B25
	v_add3_u32 v8, v37, v11, 1                                 // 000000005064: D1FF0008 02061725
	v_cndmask_b32_e64 v5, v8, v10, s[56:57]                    // 00000000506C: D1000005 00E21508
	v_perm_b32 v60, v5, v4, s35                                // 000000005074: D1ED003C 008E0905
	v_cmp_u_f32_e64 s[56:57], v38, v38                         // 00000000507C: D0480038 00024D26
	v_add3_u32 v8, v38, v11, 1                                 // 000000005084: D1FF0008 02061726
	v_cndmask_b32_e64 v4, v8, v10, s[56:57]                    // 00000000508C: D1000004 00E21508
	v_cmp_u_f32_e64 s[56:57], v39, v39                         // 000000005094: D0480038 00024F27
	v_add3_u32 v8, v39, v11, 1                                 // 00000000509C: D1FF0008 02061727
	v_cndmask_b32_e64 v5, v8, v10, s[56:57]                    // 0000000050A4: D1000005 00E21508
	v_perm_b32 v61, v5, v4, s35                                // 0000000050AC: D1ED003D 008E0905
	v_cmp_u_f32_e64 s[56:57], v40, v40                         // 0000000050B4: D0480038 00025128
	v_add3_u32 v8, v40, v11, 1                                 // 0000000050BC: D1FF0008 02061728
	v_cndmask_b32_e64 v4, v8, v10, s[56:57]                    // 0000000050C4: D1000004 00E21508
	v_cmp_u_f32_e64 s[56:57], v41, v41                         // 0000000050CC: D0480038 00025329
	v_add3_u32 v8, v41, v11, 1                                 // 0000000050D4: D1FF0008 02061729
	v_cndmask_b32_e64 v5, v8, v10, s[56:57]                    // 0000000050DC: D1000005 00E21508
	v_perm_b32 v62, v5, v4, s35                                // 0000000050E4: D1ED003E 008E0905
	v_cmp_u_f32_e64 s[56:57], v42, v42                         // 0000000050EC: D0480038 0002552A
	v_add3_u32 v8, v42, v11, 1                                 // 0000000050F4: D1FF0008 0206172A
	v_cndmask_b32_e64 v4, v8, v10, s[56:57]                    // 0000000050FC: D1000004 00E21508
	v_cmp_u_f32_e64 s[56:57], v43, v43                         // 000000005104: D0480038 0002572B
	v_add3_u32 v8, v43, v11, 1                                 // 00000000510C: D1FF0008 0206172B
	v_cndmask_b32_e64 v5, v8, v10, s[56:57]                    // 000000005114: D1000005 00E21508
	v_perm_b32 v63, v5, v4, s35                                // 00000000511C: D1ED003F 008E0905
	v_cmp_u_f32_e64 s[56:57], v44, v44                         // 000000005124: D0480038 0002592C
	v_add3_u32 v8, v44, v11, 1                                 // 00000000512C: D1FF0008 0206172C
	v_cndmask_b32_e64 v4, v8, v10, s[56:57]                    // 000000005134: D1000004 00E21508
	v_cmp_u_f32_e64 s[56:57], v45, v45                         // 00000000513C: D0480038 00025B2D
	v_add3_u32 v8, v45, v11, 1                                 // 000000005144: D1FF0008 0206172D
	v_cndmask_b32_e64 v5, v8, v10, s[56:57]                    // 00000000514C: D1000005 00E21508
	v_perm_b32 v64, v5, v4, s35                                // 000000005154: D1ED0040 008E0905
	v_cmp_u_f32_e64 s[56:57], v46, v46                         // 00000000515C: D0480038 00025D2E
	v_add3_u32 v8, v46, v11, 1                                 // 000000005164: D1FF0008 0206172E
	v_cndmask_b32_e64 v4, v8, v10, s[56:57]                    // 00000000516C: D1000004 00E21508
	v_cmp_u_f32_e64 s[56:57], v47, v47                         // 000000005174: D0480038 00025F2F
	v_add3_u32 v8, v47, v11, 1                                 // 00000000517C: D1FF0008 0206172F
	v_cndmask_b32_e64 v5, v8, v10, s[56:57]                    // 000000005184: D1000005 00E21508
	v_perm_b32 v65, v5, v4, s35                                // 00000000518C: D1ED0041 008E0905
	v_cmp_u_f32_e64 s[56:57], v48, v48                         // 000000005194: D0480038 00026130
	v_add3_u32 v8, v48, v11, 1                                 // 00000000519C: D1FF0008 02061730
	v_cndmask_b32_e64 v4, v8, v10, s[56:57]                    // 0000000051A4: D1000004 00E21508
	v_cmp_u_f32_e64 s[56:57], v49, v49                         // 0000000051AC: D0480038 00026331
	v_add3_u32 v8, v49, v11, 1                                 // 0000000051B4: D1FF0008 02061731
	v_cndmask_b32_e64 v5, v8, v10, s[56:57]                    // 0000000051BC: D1000005 00E21508
	v_perm_b32 v66, v5, v4, s35                                // 0000000051C4: D1ED0042 008E0905
	v_cmp_u_f32_e64 s[56:57], v50, v50                         // 0000000051CC: D0480038 00026532
	v_add3_u32 v8, v50, v11, 1                                 // 0000000051D4: D1FF0008 02061732
	v_cndmask_b32_e64 v4, v8, v10, s[56:57]                    // 0000000051DC: D1000004 00E21508
	v_cmp_u_f32_e64 s[56:57], v51, v51                         // 0000000051E4: D0480038 00026733
	v_add3_u32 v8, v51, v11, 1                                 // 0000000051EC: D1FF0008 02061733
	v_cndmask_b32_e64 v5, v8, v10, s[56:57]                    // 0000000051F4: D1000005 00E21508
	v_perm_b32 v67, v5, v4, s35                                // 0000000051FC: D1ED0043 008E0905
	v_cmp_u_f32_e64 s[56:57], v52, v52                         // 000000005204: D0480038 00026934
	v_add3_u32 v8, v52, v11, 1                                 // 00000000520C: D1FF0008 02061734
	v_cndmask_b32_e64 v4, v8, v10, s[56:57]                    // 000000005214: D1000004 00E21508
	v_cmp_u_f32_e64 s[56:57], v53, v53                         // 00000000521C: D0480038 00026B35
	v_add3_u32 v8, v53, v11, 1                                 // 000000005224: D1FF0008 02061735
	v_cndmask_b32_e64 v5, v8, v10, s[56:57]                    // 00000000522C: D1000005 00E21508
	v_perm_b32 v68, v5, v4, s35                                // 000000005234: D1ED0044 008E0905
	v_cmp_u_f32_e64 s[56:57], v54, v54                         // 00000000523C: D0480038 00026D36
	v_add3_u32 v8, v54, v11, 1                                 // 000000005244: D1FF0008 02061736
	v_cndmask_b32_e64 v4, v8, v10, s[56:57]                    // 00000000524C: D1000004 00E21508
	v_cmp_u_f32_e64 s[56:57], v55, v55                         // 000000005254: D0480038 00026F37
	v_add3_u32 v8, v55, v11, 1                                 // 00000000525C: D1FF0008 02061737
	v_cndmask_b32_e64 v5, v8, v10, s[56:57]                    // 000000005264: D1000005 00E21508
	v_perm_b32 v69, v5, v4, s35                                // 00000000526C: D1ED0045 008E0905
	v_cmp_u_f32_e64 s[56:57], v56, v56                         // 000000005274: D0480038 00027138
	v_add3_u32 v8, v56, v11, 1                                 // 00000000527C: D1FF0008 02061738
	v_cndmask_b32_e64 v4, v8, v10, s[56:57]                    // 000000005284: D1000004 00E21508
	v_cmp_u_f32_e64 s[56:57], v57, v57                         // 00000000528C: D0480038 00027339
	v_add3_u32 v8, v57, v11, 1                                 // 000000005294: D1FF0008 02061739
	v_cndmask_b32_e64 v5, v8, v10, s[56:57]                    // 00000000529C: D1000005 00E21508
	v_perm_b32 v70, v5, v4, s35                                // 0000000052A4: D1ED0046 008E0905
	v_cmp_u_f32_e64 s[56:57], v58, v58                         // 0000000052AC: D0480038 0002753A
	v_add3_u32 v8, v58, v11, 1                                 // 0000000052B4: D1FF0008 0206173A
	v_cndmask_b32_e64 v4, v8, v10, s[56:57]                    // 0000000052BC: D1000004 00E21508
	v_cmp_u_f32_e64 s[56:57], v59, v59                         // 0000000052C4: D0480038 0002773B
	v_add3_u32 v8, v59, v11, 1                                 // 0000000052CC: D1FF0008 0206173B
	v_cndmask_b32_e64 v5, v8, v10, s[56:57]                    // 0000000052D4: D1000005 00E21508
	v_perm_b32 v71, v5, v4, s35                                // 0000000052DC: D1ED0047 008E0905
	ds_write_b64 v31, v[60:61]                                 // 0000000052E4: D89A0000 00003C1F
	ds_write_b64 v31, v[62:63] offset:2176                     // 0000000052EC: D89A0880 00003E1F
	ds_write_b64 v31, v[64:65] offset:4352                     // 0000000052F4: D89A1100 0000401F
	ds_write_b64 v31, v[66:67] offset:6528                     // 0000000052FC: D89A1980 0000421F
	ds_write_b64 v31, v[68:69] offset:8704                     // 000000005304: D89A2200 0000441F
	ds_write_b64 v31, v[70:71] offset:10880                    // 00000000530C: D89A2A80 0000461F
	s_waitcnt lgkmcnt(0)                                       // 000000005314: BF8CC07F
	s_barrier                                                  // 000000005318: BF8A0000
	ds_read_b32 v60, v34                                       // 00000000531C: D86C0000 3C000022
	ds_read_b32 v61, v34 offset:64                             // 000000005324: D86C0040 3D000022
	ds_read_b32 v62, v34 offset:2176                           // 00000000532C: D86C0880 3E000022
	ds_read_b32 v63, v34 offset:2240                           // 000000005334: D86C08C0 3F000022
	ds_read_b32 v64, v34 offset:4352                           // 00000000533C: D86C1100 40000022
	ds_read_b32 v65, v34 offset:4416                           // 000000005344: D86C1140 41000022
	ds_read_b32 v66, v34 offset:6528                           // 00000000534C: D86C1980 42000022
	ds_read_b32 v67, v34 offset:6592                           // 000000005354: D86C19C0 43000022
	ds_read_b32 v68, v34 offset:8704                           // 00000000535C: D86C2200 44000022
	ds_read_b32 v69, v34 offset:8768                           // 000000005364: D86C2240 45000022
	ds_read_b32 v70, v34 offset:10880                          // 00000000536C: D86C2A80 46000022
	ds_read_b32 v71, v34 offset:10944                          // 000000005374: D86C2AC0 47000022
	s_waitcnt lgkmcnt(0)                                       // 00000000537C: BF8CC07F
	s_mul_i32 s31, s30, 8                                      // 000000005380: 921F881E
	v_mov_b32_e32 v4, v18                                      // 000000005384: 7E080312
	global_atomic_pk_add_bf16 v4, v60, s[16:17]                // 000000005388: DD488000 00103C04
	v_add_u32_e64 v4, v4, s31                                  // 000000005390: D1340004 00003F04
	global_atomic_pk_add_bf16 v4, v61, s[16:17]                // 000000005398: DD488000 00103D04
	v_add_u32_e64 v4, v4, s31                                  // 0000000053A0: D1340004 00003F04
	global_atomic_pk_add_bf16 v4, v62, s[16:17]                // 0000000053A8: DD488000 00103E04
	v_add_u32_e64 v4, v4, s31                                  // 0000000053B0: D1340004 00003F04
	global_atomic_pk_add_bf16 v4, v63, s[16:17]                // 0000000053B8: DD488000 00103F04
	v_add_u32_e64 v4, v4, s31                                  // 0000000053C0: D1340004 00003F04
	global_atomic_pk_add_bf16 v4, v64, s[16:17]                // 0000000053C8: DD488000 00104004
	v_add_u32_e64 v4, v4, s31                                  // 0000000053D0: D1340004 00003F04
	global_atomic_pk_add_bf16 v4, v65, s[16:17]                // 0000000053D8: DD488000 00104104
	v_add_u32_e64 v4, v4, s31                                  // 0000000053E0: D1340004 00003F04
	global_atomic_pk_add_bf16 v4, v66, s[16:17]                // 0000000053E8: DD488000 00104204
	v_add_u32_e64 v4, v4, s31                                  // 0000000053F0: D1340004 00003F04
	global_atomic_pk_add_bf16 v4, v67, s[16:17]                // 0000000053F8: DD488000 00104304
	v_add_u32_e64 v4, v4, s31                                  // 000000005400: D1340004 00003F04
	global_atomic_pk_add_bf16 v4, v68, s[16:17]                // 000000005408: DD488000 00104404
	v_add_u32_e64 v4, v4, s31                                  // 000000005410: D1340004 00003F04
	global_atomic_pk_add_bf16 v4, v69, s[16:17]                // 000000005418: DD488000 00104504
	;; [unrolled: 2-line block ×4, first 2 shown]
	v_add_u32_e64 v4, v4, s31                                  // 000000005440: D1340004 00003F04
	s_branch label_0E8B                                        // 000000005448: BF8203B8

000000000000544c <label_0AD3>:
	v_mov_b32_e32 v5, 0                                        // 00000000544C: 7E0A0280
	s_and_b32 s17, s17, 0xffff                                 // 000000005450: 8611FF11 0000FFFF
	s_cmp_lt_u32 s50, 1                                        // 000000005458: BF0A8132
	s_cbranch_scc0 label_0BDD                                  // 00000000545C: BF840105
	v_lshrrev_b32_e32 v4, 4, v0                                // 000000005460: 20080084
	v_mul_u32_u24_e32 v31, 0x44, v4                            // 000000005464: 103E08FF 00000044
	v_and_b32_e32 v4, 15, v0                                   // 00000000546C: 2608008F
	v_mul_lo_u32 v5, 4, v4                                     // 000000005470: D2850005 00020884
	v_add_u32_e32 v31, v5, v31                                 // 000000005478: 683E3F05
	s_mul_i32 s31, s24, 0x110                                  // 00000000547C: 921FFF18 00000110
	v_add_u32_e32 v31, s31, v31                                // 000000005484: 683E3E1F
	v_lshlrev_b32_e32 v31, 2, v31                              // 000000005488: 243E3E82
	v_lshrrev_b32_e32 v4, 2, v0                                // 00000000548C: 20080082
	v_mul_u32_u24_e32 v34, 0x44, v4                            // 000000005490: 104408FF 00000044
	v_and_b32_e32 v4, 3, v0                                    // 000000005498: 26080083
	v_add_u32_e32 v34, v4, v34                                 // 00000000549C: 68444504
	s_mul_i32 s31, s24, 4                                      // 0000000054A0: 921F8418
	v_add_u32_e32 v34, s31, v34                                // 0000000054A4: 6844441F
	v_lshlrev_b32_e32 v34, 2, v34                              // 0000000054A8: 24444482
	s_lshr_b32 s31, s51, 2                                     // 0000000054AC: 8F1F8233
	s_and_b32 s32, s51, 3                                      // 0000000054B0: 86208333
	s_cmp_lt_u32 s24, s32                                      // 0000000054B4: BF0A2018
	s_cselect_b32 s32, 1, 0                                    // 0000000054B8: 85208081
	s_add_u32 s51, s31, s32                                    // 0000000054BC: 8033201F
	s_mov_b32 s33, 0                                           // 0000000054C0: BEA10080
	s_waitcnt vmcnt(0) expcnt(0) lgkmcnt(0)                    // 0000000054C4: BF8C0000
	s_barrier                                                  // 0000000054C8: BF8A0000
	ds_write_b128 v31, v[36:39]                                // 0000000054CC: D9BE0000 0000241F
	ds_write_b128 v31, v[40:43] offset:4352                    // 0000000054D4: D9BE1100 0000281F
	ds_write_b128 v31, v[44:47] offset:8704                    // 0000000054DC: D9BE2200 00002C1F
	ds_write_b128 v31, v[48:51] offset:13056                   // 0000000054E4: D9BE3300 0000301F
	ds_write_b128 v31, v[52:55] offset:17408                   // 0000000054EC: D9BE4400 0000341F
	ds_write_b128 v31, v[56:59] offset:21760                   // 0000000054F4: D9BE5500 0000381F
	s_waitcnt lgkmcnt(0)                                       // 0000000054FC: BF8CC07F
	s_barrier                                                  // 000000005500: BF8A0000
	ds_read_b32 v36, v34                                       // 000000005504: D86C0000 24000022
	ds_read_b32 v37, v34 offset:64                             // 00000000550C: D86C0040 25000022
	ds_read_b32 v38, v34 offset:128                            // 000000005514: D86C0080 26000022
	ds_read_b32 v39, v34 offset:192                            // 00000000551C: D86C00C0 27000022
	ds_read_b32 v40, v34 offset:4352                           // 000000005524: D86C1100 28000022
	ds_read_b32 v41, v34 offset:4416                           // 00000000552C: D86C1140 29000022
	ds_read_b32 v42, v34 offset:4480                           // 000000005534: D86C1180 2A000022
	ds_read_b32 v43, v34 offset:4544                           // 00000000553C: D86C11C0 2B000022
	ds_read_b32 v44, v34 offset:8704                           // 000000005544: D86C2200 2C000022
	ds_read_b32 v45, v34 offset:8768                           // 00000000554C: D86C2240 2D000022
	ds_read_b32 v46, v34 offset:8832                           // 000000005554: D86C2280 2E000022
	ds_read_b32 v47, v34 offset:8896                           // 00000000555C: D86C22C0 2F000022
	ds_read_b32 v48, v34 offset:13056                          // 000000005564: D86C3300 30000022
	ds_read_b32 v49, v34 offset:13120                          // 00000000556C: D86C3340 31000022
	ds_read_b32 v50, v34 offset:13184                          // 000000005574: D86C3380 32000022
	ds_read_b32 v51, v34 offset:13248                          // 00000000557C: D86C33C0 33000022
	ds_read_b32 v52, v34 offset:17408                          // 000000005584: D86C4400 34000022
	ds_read_b32 v53, v34 offset:17472                          // 00000000558C: D86C4440 35000022
	ds_read_b32 v54, v34 offset:17536                          // 000000005594: D86C4480 36000022
	ds_read_b32 v55, v34 offset:17600                          // 00000000559C: D86C44C0 37000022
	ds_read_b32 v56, v34 offset:21760                          // 0000000055A4: D86C5500 38000022
	ds_read_b32 v57, v34 offset:21824                          // 0000000055AC: D86C5540 39000022
	ds_read_b32 v58, v34 offset:21888                          // 0000000055B4: D86C5580 3A000022
	ds_read_b32 v59, v34 offset:21952                          // 0000000055BC: D86C55C0 3B000022
	s_waitcnt lgkmcnt(0)                                       // 0000000055C4: BF8CC07F
	s_mul_i32 s31, s30, 4                                      // 0000000055C8: 921F841E
	v_mov_b32_e32 v4, v18                                      // 0000000055CC: 7E080312
	s_cmp_lt_i32 s33, s51                                      // 0000000055D0: BF043321
	s_cbranch_scc0 label_0E8B                                  // 0000000055D4: BF840355
	global_atomic_add_f32 v4, v36, s[16:17]                    // 0000000055D8: DD348000 00102404
	v_add_u32_e64 v4, v4, s31                                  // 0000000055E0: D1340004 00003F04
	s_addk_i32 s33, 0x1                                        // 0000000055E8: B7210001
	s_cmp_lt_i32 s33, s51                                      // 0000000055EC: BF043321
	s_cbranch_scc0 label_0E8B                                  // 0000000055F0: BF84034E
	global_atomic_add_f32 v4, v37, s[16:17]                    // 0000000055F4: DD348000 00102504
	v_add_u32_e64 v4, v4, s31                                  // 0000000055FC: D1340004 00003F04
	s_addk_i32 s33, 0x1                                        // 000000005604: B7210001
	s_cmp_lt_i32 s33, s51                                      // 000000005608: BF043321
	s_cbranch_scc0 label_0E8B                                  // 00000000560C: BF840347
	global_atomic_add_f32 v4, v38, s[16:17]                    // 000000005610: DD348000 00102604
	v_add_u32_e64 v4, v4, s31                                  // 000000005618: D1340004 00003F04
	s_addk_i32 s33, 0x1                                        // 000000005620: B7210001
	s_cmp_lt_i32 s33, s51                                      // 000000005624: BF043321
	s_cbranch_scc0 label_0E8B                                  // 000000005628: BF840340
	global_atomic_add_f32 v4, v39, s[16:17]                    // 00000000562C: DD348000 00102704
	v_add_u32_e64 v4, v4, s31                                  // 000000005634: D1340004 00003F04
	s_addk_i32 s33, 0x1                                        // 00000000563C: B7210001
	s_cmp_lt_i32 s33, s51                                      // 000000005640: BF043321
	s_cbranch_scc0 label_0E8B                                  // 000000005644: BF840339
	global_atomic_add_f32 v4, v40, s[16:17]                    // 000000005648: DD348000 00102804
	v_add_u32_e64 v4, v4, s31                                  // 000000005650: D1340004 00003F04
	s_addk_i32 s33, 0x1                                        // 000000005658: B7210001
	s_cmp_lt_i32 s33, s51                                      // 00000000565C: BF043321
	s_cbranch_scc0 label_0E8B                                  // 000000005660: BF840332
	global_atomic_add_f32 v4, v41, s[16:17]                    // 000000005664: DD348000 00102904
	v_add_u32_e64 v4, v4, s31                                  // 00000000566C: D1340004 00003F04
	s_addk_i32 s33, 0x1                                        // 000000005674: B7210001
	s_cmp_lt_i32 s33, s51                                      // 000000005678: BF043321
	s_cbranch_scc0 label_0E8B                                  // 00000000567C: BF84032B
	global_atomic_add_f32 v4, v42, s[16:17]                    // 000000005680: DD348000 00102A04
	v_add_u32_e64 v4, v4, s31                                  // 000000005688: D1340004 00003F04
	s_addk_i32 s33, 0x1                                        // 000000005690: B7210001
	s_cmp_lt_i32 s33, s51                                      // 000000005694: BF043321
	s_cbranch_scc0 label_0E8B                                  // 000000005698: BF840324
	global_atomic_add_f32 v4, v43, s[16:17]                    // 00000000569C: DD348000 00102B04
	v_add_u32_e64 v4, v4, s31                                  // 0000000056A4: D1340004 00003F04
	s_addk_i32 s33, 0x1                                        // 0000000056AC: B7210001
	s_cmp_lt_i32 s33, s51                                      // 0000000056B0: BF043321
	s_cbranch_scc0 label_0E8B                                  // 0000000056B4: BF84031D
	global_atomic_add_f32 v4, v44, s[16:17]                    // 0000000056B8: DD348000 00102C04
	v_add_u32_e64 v4, v4, s31                                  // 0000000056C0: D1340004 00003F04
	s_addk_i32 s33, 0x1                                        // 0000000056C8: B7210001
	s_cmp_lt_i32 s33, s51                                      // 0000000056CC: BF043321
	s_cbranch_scc0 label_0E8B                                  // 0000000056D0: BF840316
	global_atomic_add_f32 v4, v45, s[16:17]                    // 0000000056D4: DD348000 00102D04
	v_add_u32_e64 v4, v4, s31                                  // 0000000056DC: D1340004 00003F04
	s_addk_i32 s33, 0x1                                        // 0000000056E4: B7210001
	s_cmp_lt_i32 s33, s51                                      // 0000000056E8: BF043321
	s_cbranch_scc0 label_0E8B                                  // 0000000056EC: BF84030F
	global_atomic_add_f32 v4, v46, s[16:17]                    // 0000000056F0: DD348000 00102E04
	v_add_u32_e64 v4, v4, s31                                  // 0000000056F8: D1340004 00003F04
	s_addk_i32 s33, 0x1                                        // 000000005700: B7210001
	s_cmp_lt_i32 s33, s51                                      // 000000005704: BF043321
	s_cbranch_scc0 label_0E8B                                  // 000000005708: BF840308
	global_atomic_add_f32 v4, v47, s[16:17]                    // 00000000570C: DD348000 00102F04
	v_add_u32_e64 v4, v4, s31                                  // 000000005714: D1340004 00003F04
	s_addk_i32 s33, 0x1                                        // 00000000571C: B7210001
	s_cmp_lt_i32 s33, s51                                      // 000000005720: BF043321
	s_cbranch_scc0 label_0E8B                                  // 000000005724: BF840301
	global_atomic_add_f32 v4, v48, s[16:17]                    // 000000005728: DD348000 00103004
	v_add_u32_e64 v4, v4, s31                                  // 000000005730: D1340004 00003F04
	s_addk_i32 s33, 0x1                                        // 000000005738: B7210001
	s_cmp_lt_i32 s33, s51                                      // 00000000573C: BF043321
	s_cbranch_scc0 label_0E8B                                  // 000000005740: BF8402FA
	global_atomic_add_f32 v4, v49, s[16:17]                    // 000000005744: DD348000 00103104
	v_add_u32_e64 v4, v4, s31                                  // 00000000574C: D1340004 00003F04
	s_addk_i32 s33, 0x1                                        // 000000005754: B7210001
	s_cmp_lt_i32 s33, s51                                      // 000000005758: BF043321
	s_cbranch_scc0 label_0E8B                                  // 00000000575C: BF8402F3
	global_atomic_add_f32 v4, v50, s[16:17]                    // 000000005760: DD348000 00103204
	v_add_u32_e64 v4, v4, s31                                  // 000000005768: D1340004 00003F04
	s_addk_i32 s33, 0x1                                        // 000000005770: B7210001
	s_cmp_lt_i32 s33, s51                                      // 000000005774: BF043321
	s_cbranch_scc0 label_0E8B                                  // 000000005778: BF8402EC
	global_atomic_add_f32 v4, v51, s[16:17]                    // 00000000577C: DD348000 00103304
	v_add_u32_e64 v4, v4, s31                                  // 000000005784: D1340004 00003F04
	s_addk_i32 s33, 0x1                                        // 00000000578C: B7210001
	s_cmp_lt_i32 s33, s51                                      // 000000005790: BF043321
	s_cbranch_scc0 label_0E8B                                  // 000000005794: BF8402E5
	global_atomic_add_f32 v4, v52, s[16:17]                    // 000000005798: DD348000 00103404
	v_add_u32_e64 v4, v4, s31                                  // 0000000057A0: D1340004 00003F04
	s_addk_i32 s33, 0x1                                        // 0000000057A8: B7210001
	s_cmp_lt_i32 s33, s51                                      // 0000000057AC: BF043321
	s_cbranch_scc0 label_0E8B                                  // 0000000057B0: BF8402DE
	global_atomic_add_f32 v4, v53, s[16:17]                    // 0000000057B4: DD348000 00103504
	v_add_u32_e64 v4, v4, s31                                  // 0000000057BC: D1340004 00003F04
	s_addk_i32 s33, 0x1                                        // 0000000057C4: B7210001
	s_cmp_lt_i32 s33, s51                                      // 0000000057C8: BF043321
	s_cbranch_scc0 label_0E8B                                  // 0000000057CC: BF8402D7
	global_atomic_add_f32 v4, v54, s[16:17]                    // 0000000057D0: DD348000 00103604
	v_add_u32_e64 v4, v4, s31                                  // 0000000057D8: D1340004 00003F04
	s_addk_i32 s33, 0x1                                        // 0000000057E0: B7210001
	s_cmp_lt_i32 s33, s51                                      // 0000000057E4: BF043321
	s_cbranch_scc0 label_0E8B                                  // 0000000057E8: BF8402D0
	global_atomic_add_f32 v4, v55, s[16:17]                    // 0000000057EC: DD348000 00103704
	v_add_u32_e64 v4, v4, s31                                  // 0000000057F4: D1340004 00003F04
	s_addk_i32 s33, 0x1                                        // 0000000057FC: B7210001
	s_cmp_lt_i32 s33, s51                                      // 000000005800: BF043321
	s_cbranch_scc0 label_0E8B                                  // 000000005804: BF8402C9
	global_atomic_add_f32 v4, v56, s[16:17]                    // 000000005808: DD348000 00103804
	v_add_u32_e64 v4, v4, s31                                  // 000000005810: D1340004 00003F04
	s_addk_i32 s33, 0x1                                        // 000000005818: B7210001
	s_cmp_lt_i32 s33, s51                                      // 00000000581C: BF043321
	s_cbranch_scc0 label_0E8B                                  // 000000005820: BF8402C2
	global_atomic_add_f32 v4, v57, s[16:17]                    // 000000005824: DD348000 00103904
	v_add_u32_e64 v4, v4, s31                                  // 00000000582C: D1340004 00003F04
	s_addk_i32 s33, 0x1                                        // 000000005834: B7210001
	s_cmp_lt_i32 s33, s51                                      // 000000005838: BF043321
	s_cbranch_scc0 label_0E8B                                  // 00000000583C: BF8402BB
	global_atomic_add_f32 v4, v58, s[16:17]                    // 000000005840: DD348000 00103A04
	v_add_u32_e64 v4, v4, s31                                  // 000000005848: D1340004 00003F04
	s_addk_i32 s33, 0x1                                        // 000000005850: B7210001
	s_cmp_lt_i32 s33, s51                                      // 000000005854: BF043321
	s_cbranch_scc0 label_0E8B                                  // 000000005858: BF8402B4
	global_atomic_add_f32 v4, v59, s[16:17]                    // 00000000585C: DD348000 00103B04
	v_add_u32_e64 v4, v4, s31                                  // 000000005864: D1340004 00003F04
	s_addk_i32 s33, 0x1                                        // 00000000586C: B7210001
	s_branch label_0E8B                                        // 000000005870: BF8202AE

0000000000005874 <label_0BDD>:
	v_lshrrev_b32_e32 v4, 4, v0                                // 000000005874: 20080084
	v_mul_u32_u24_e32 v31, 34, v4                              // 000000005878: 103E08A2
	v_and_b32_e32 v4, 15, v0                                   // 00000000587C: 2608008F
	v_mul_lo_u32 v5, 2, v4                                     // 000000005880: D2850005 00020882
	v_add_u32_e32 v31, v5, v31                                 // 000000005888: 683E3F05
	s_mul_i32 s31, s24, 0x88                                   // 00000000588C: 921FFF18 00000088
	v_add_u32_e32 v31, s31, v31                                // 000000005894: 683E3E1F
	v_lshlrev_b32_e32 v31, 2, v31                              // 000000005898: 243E3E82
	v_and_b32_e32 v4, 31, v0                                   // 00000000589C: 2608009F
	v_lshrrev_b32_e32 v5, 1, v4                                // 0000000058A0: 200A0881
	v_mul_u32_u24_e32 v34, 34, v5                              // 0000000058A4: 10440AA2
	v_and_b32_e32 v5, 1, v4                                    // 0000000058A8: 260A0881
	v_add_u32_e32 v34, v5, v34                                 // 0000000058AC: 68444505
	v_lshrrev_b32_e32 v4, 5, v0                                // 0000000058B0: 20080085
	v_mul_u32_u24_e32 v4, 8, v4                                // 0000000058B4: 10080888
	v_add_u32_e32 v34, v4, v34                                 // 0000000058B8: 68444504
	s_mul_i32 s31, s24, 2                                      // 0000000058BC: 921F8218
	v_add_u32_e32 v34, s31, v34                                // 0000000058C0: 6844441F
	v_lshlrev_b32_e32 v34, 2, v34                              // 0000000058C4: 24444482
	s_lshr_b32 s31, s51, 2                                     // 0000000058C8: 8F1F8233
	s_and_b32 s32, s51, 3                                      // 0000000058CC: 86208333
	s_cmp_lt_u32 s24, s32                                      // 0000000058D0: BF0A2018
	s_cselect_b32 s32, 1, 0                                    // 0000000058D4: 85208081
	s_add_u32 s51, s31, s32                                    // 0000000058D8: 8033201F
	s_mov_b32 s33, 0                                           // 0000000058DC: BEA10080
	s_waitcnt vmcnt(0) expcnt(0) lgkmcnt(0)                    // 0000000058E0: BF8C0000
	s_barrier                                                  // 0000000058E4: BF8A0000
	v_cmp_u_f32_e64 s[56:57], v36, v36                         // 0000000058E8: D0480038 00024924
	v_add3_u32 v8, v36, v11, 1                                 // 0000000058F0: D1FF0008 02061724
	v_cndmask_b32_e64 v4, v8, v10, s[56:57]                    // 0000000058F8: D1000004 00E21508
	v_cmp_u_f32_e64 s[56:57], v37, v37                         // 000000005900: D0480038 00024B25
	v_add3_u32 v8, v37, v11, 1                                 // 000000005908: D1FF0008 02061725
	v_cndmask_b32_e64 v5, v8, v10, s[56:57]                    // 000000005910: D1000005 00E21508
	v_perm_b32 v60, v5, v4, s35                                // 000000005918: D1ED003C 008E0905
	v_cmp_u_f32_e64 s[56:57], v38, v38                         // 000000005920: D0480038 00024D26
	v_add3_u32 v8, v38, v11, 1                                 // 000000005928: D1FF0008 02061726
	v_cndmask_b32_e64 v4, v8, v10, s[56:57]                    // 000000005930: D1000004 00E21508
	v_cmp_u_f32_e64 s[56:57], v39, v39                         // 000000005938: D0480038 00024F27
	v_add3_u32 v8, v39, v11, 1                                 // 000000005940: D1FF0008 02061727
	v_cndmask_b32_e64 v5, v8, v10, s[56:57]                    // 000000005948: D1000005 00E21508
	v_perm_b32 v61, v5, v4, s35                                // 000000005950: D1ED003D 008E0905
	v_cmp_u_f32_e64 s[56:57], v40, v40                         // 000000005958: D0480038 00025128
	v_add3_u32 v8, v40, v11, 1                                 // 000000005960: D1FF0008 02061728
	v_cndmask_b32_e64 v4, v8, v10, s[56:57]                    // 000000005968: D1000004 00E21508
	v_cmp_u_f32_e64 s[56:57], v41, v41                         // 000000005970: D0480038 00025329
	v_add3_u32 v8, v41, v11, 1                                 // 000000005978: D1FF0008 02061729
	v_cndmask_b32_e64 v5, v8, v10, s[56:57]                    // 000000005980: D1000005 00E21508
	v_perm_b32 v62, v5, v4, s35                                // 000000005988: D1ED003E 008E0905
	v_cmp_u_f32_e64 s[56:57], v42, v42                         // 000000005990: D0480038 0002552A
	v_add3_u32 v8, v42, v11, 1                                 // 000000005998: D1FF0008 0206172A
	v_cndmask_b32_e64 v4, v8, v10, s[56:57]                    // 0000000059A0: D1000004 00E21508
	v_cmp_u_f32_e64 s[56:57], v43, v43                         // 0000000059A8: D0480038 0002572B
	v_add3_u32 v8, v43, v11, 1                                 // 0000000059B0: D1FF0008 0206172B
	v_cndmask_b32_e64 v5, v8, v10, s[56:57]                    // 0000000059B8: D1000005 00E21508
	v_perm_b32 v63, v5, v4, s35                                // 0000000059C0: D1ED003F 008E0905
	v_cmp_u_f32_e64 s[56:57], v44, v44                         // 0000000059C8: D0480038 0002592C
	v_add3_u32 v8, v44, v11, 1                                 // 0000000059D0: D1FF0008 0206172C
	v_cndmask_b32_e64 v4, v8, v10, s[56:57]                    // 0000000059D8: D1000004 00E21508
	v_cmp_u_f32_e64 s[56:57], v45, v45                         // 0000000059E0: D0480038 00025B2D
	v_add3_u32 v8, v45, v11, 1                                 // 0000000059E8: D1FF0008 0206172D
	v_cndmask_b32_e64 v5, v8, v10, s[56:57]                    // 0000000059F0: D1000005 00E21508
	v_perm_b32 v64, v5, v4, s35                                // 0000000059F8: D1ED0040 008E0905
	v_cmp_u_f32_e64 s[56:57], v46, v46                         // 000000005A00: D0480038 00025D2E
	v_add3_u32 v8, v46, v11, 1                                 // 000000005A08: D1FF0008 0206172E
	v_cndmask_b32_e64 v4, v8, v10, s[56:57]                    // 000000005A10: D1000004 00E21508
	v_cmp_u_f32_e64 s[56:57], v47, v47                         // 000000005A18: D0480038 00025F2F
	v_add3_u32 v8, v47, v11, 1                                 // 000000005A20: D1FF0008 0206172F
	v_cndmask_b32_e64 v5, v8, v10, s[56:57]                    // 000000005A28: D1000005 00E21508
	v_perm_b32 v65, v5, v4, s35                                // 000000005A30: D1ED0041 008E0905
	v_cmp_u_f32_e64 s[56:57], v48, v48                         // 000000005A38: D0480038 00026130
	v_add3_u32 v8, v48, v11, 1                                 // 000000005A40: D1FF0008 02061730
	v_cndmask_b32_e64 v4, v8, v10, s[56:57]                    // 000000005A48: D1000004 00E21508
	v_cmp_u_f32_e64 s[56:57], v49, v49                         // 000000005A50: D0480038 00026331
	v_add3_u32 v8, v49, v11, 1                                 // 000000005A58: D1FF0008 02061731
	v_cndmask_b32_e64 v5, v8, v10, s[56:57]                    // 000000005A60: D1000005 00E21508
	v_perm_b32 v66, v5, v4, s35                                // 000000005A68: D1ED0042 008E0905
	v_cmp_u_f32_e64 s[56:57], v50, v50                         // 000000005A70: D0480038 00026532
	v_add3_u32 v8, v50, v11, 1                                 // 000000005A78: D1FF0008 02061732
	v_cndmask_b32_e64 v4, v8, v10, s[56:57]                    // 000000005A80: D1000004 00E21508
	v_cmp_u_f32_e64 s[56:57], v51, v51                         // 000000005A88: D0480038 00026733
	v_add3_u32 v8, v51, v11, 1                                 // 000000005A90: D1FF0008 02061733
	v_cndmask_b32_e64 v5, v8, v10, s[56:57]                    // 000000005A98: D1000005 00E21508
	v_perm_b32 v67, v5, v4, s35                                // 000000005AA0: D1ED0043 008E0905
	v_cmp_u_f32_e64 s[56:57], v52, v52                         // 000000005AA8: D0480038 00026934
	v_add3_u32 v8, v52, v11, 1                                 // 000000005AB0: D1FF0008 02061734
	v_cndmask_b32_e64 v4, v8, v10, s[56:57]                    // 000000005AB8: D1000004 00E21508
	v_cmp_u_f32_e64 s[56:57], v53, v53                         // 000000005AC0: D0480038 00026B35
	v_add3_u32 v8, v53, v11, 1                                 // 000000005AC8: D1FF0008 02061735
	v_cndmask_b32_e64 v5, v8, v10, s[56:57]                    // 000000005AD0: D1000005 00E21508
	v_perm_b32 v68, v5, v4, s35                                // 000000005AD8: D1ED0044 008E0905
	v_cmp_u_f32_e64 s[56:57], v54, v54                         // 000000005AE0: D0480038 00026D36
	v_add3_u32 v8, v54, v11, 1                                 // 000000005AE8: D1FF0008 02061736
	v_cndmask_b32_e64 v4, v8, v10, s[56:57]                    // 000000005AF0: D1000004 00E21508
	v_cmp_u_f32_e64 s[56:57], v55, v55                         // 000000005AF8: D0480038 00026F37
	v_add3_u32 v8, v55, v11, 1                                 // 000000005B00: D1FF0008 02061737
	v_cndmask_b32_e64 v5, v8, v10, s[56:57]                    // 000000005B08: D1000005 00E21508
	v_perm_b32 v69, v5, v4, s35                                // 000000005B10: D1ED0045 008E0905
	v_cmp_u_f32_e64 s[56:57], v56, v56                         // 000000005B18: D0480038 00027138
	v_add3_u32 v8, v56, v11, 1                                 // 000000005B20: D1FF0008 02061738
	v_cndmask_b32_e64 v4, v8, v10, s[56:57]                    // 000000005B28: D1000004 00E21508
	v_cmp_u_f32_e64 s[56:57], v57, v57                         // 000000005B30: D0480038 00027339
	v_add3_u32 v8, v57, v11, 1                                 // 000000005B38: D1FF0008 02061739
	v_cndmask_b32_e64 v5, v8, v10, s[56:57]                    // 000000005B40: D1000005 00E21508
	v_perm_b32 v70, v5, v4, s35                                // 000000005B48: D1ED0046 008E0905
	v_cmp_u_f32_e64 s[56:57], v58, v58                         // 000000005B50: D0480038 0002753A
	v_add3_u32 v8, v58, v11, 1                                 // 000000005B58: D1FF0008 0206173A
	v_cndmask_b32_e64 v4, v8, v10, s[56:57]                    // 000000005B60: D1000004 00E21508
	v_cmp_u_f32_e64 s[56:57], v59, v59                         // 000000005B68: D0480038 0002773B
	v_add3_u32 v8, v59, v11, 1                                 // 000000005B70: D1FF0008 0206173B
	v_cndmask_b32_e64 v5, v8, v10, s[56:57]                    // 000000005B78: D1000005 00E21508
	v_perm_b32 v71, v5, v4, s35                                // 000000005B80: D1ED0047 008E0905
	ds_write_b64 v31, v[60:61]                                 // 000000005B88: D89A0000 00003C1F
	ds_write_b64 v31, v[62:63] offset:2176                     // 000000005B90: D89A0880 00003E1F
	ds_write_b64 v31, v[64:65] offset:4352                     // 000000005B98: D89A1100 0000401F
	ds_write_b64 v31, v[66:67] offset:6528                     // 000000005BA0: D89A1980 0000421F
	ds_write_b64 v31, v[68:69] offset:8704                     // 000000005BA8: D89A2200 0000441F
	ds_write_b64 v31, v[70:71] offset:10880                    // 000000005BB0: D89A2A80 0000461F
	s_waitcnt lgkmcnt(0)                                       // 000000005BB8: BF8CC07F
	s_barrier                                                  // 000000005BBC: BF8A0000
	ds_read_b32 v60, v34                                       // 000000005BC0: D86C0000 3C000022
	ds_read_b32 v61, v34 offset:64                             // 000000005BC8: D86C0040 3D000022
	ds_read_b32 v62, v34 offset:2176                           // 000000005BD0: D86C0880 3E000022
	ds_read_b32 v63, v34 offset:2240                           // 000000005BD8: D86C08C0 3F000022
	ds_read_b32 v64, v34 offset:4352                           // 000000005BE0: D86C1100 40000022
	ds_read_b32 v65, v34 offset:4416                           // 000000005BE8: D86C1140 41000022
	ds_read_b32 v66, v34 offset:6528                           // 000000005BF0: D86C1980 42000022
	ds_read_b32 v67, v34 offset:6592                           // 000000005BF8: D86C19C0 43000022
	ds_read_b32 v68, v34 offset:8704                           // 000000005C00: D86C2200 44000022
	ds_read_b32 v69, v34 offset:8768                           // 000000005C08: D86C2240 45000022
	ds_read_b32 v70, v34 offset:10880                          // 000000005C10: D86C2A80 46000022
	ds_read_b32 v71, v34 offset:10944                          // 000000005C18: D86C2AC0 47000022
	s_waitcnt lgkmcnt(0)                                       // 000000005C20: BF8CC07F
	s_mul_i32 s31, s30, 8                                      // 000000005C24: 921F881E
	v_mov_b32_e32 v4, v18                                      // 000000005C28: 7E080312
	s_cmp_lt_i32 s33, s51                                      // 000000005C2C: BF043321
	s_cbranch_scc0 label_0E8B                                  // 000000005C30: BF8401BE
	s_mov_b32 s54, -1                                          // 000000005C34: BEB600C1
	s_mov_b32 s55, 0                                           // 000000005C38: BEB70080
	s_mov_b64 exec, s[54:55]                                   // 000000005C3C: BEFE0136
	global_atomic_pk_add_bf16 v4, v60, s[16:17]                // 000000005C40: DD488000 00103C04
	s_addk_i32 s33, 0x1                                        // 000000005C48: B7210001
	s_cmp_lt_i32 s33, s51                                      // 000000005C4C: BF043321
	s_cbranch_scc0 label_0E8B                                  // 000000005C50: BF8401B6
	s_mov_b32 s54, 0                                           // 000000005C54: BEB60080
	s_mov_b32 s55, -1                                          // 000000005C58: BEB700C1
	s_mov_b64 exec, s[54:55]                                   // 000000005C5C: BEFE0136
	global_atomic_pk_add_bf16 v4, v60, s[16:17]                // 000000005C60: DD488000 00103C04
	s_addk_i32 s33, 0x1                                        // 000000005C68: B7210001
	s_mov_b32 s54, -1                                          // 000000005C6C: BEB600C1
	s_mov_b32 s55, -1                                          // 000000005C70: BEB700C1
	s_mov_b64 exec, s[54:55]                                   // 000000005C74: BEFE0136
	v_add_u32_e64 v4, v4, s31                                  // 000000005C78: D1340004 00003F04
	s_cmp_lt_i32 s33, s51                                      // 000000005C80: BF043321
	s_cbranch_scc0 label_0E8B                                  // 000000005C84: BF8401A9
	s_mov_b32 s54, -1                                          // 000000005C88: BEB600C1
	s_mov_b32 s55, 0                                           // 000000005C8C: BEB70080
	s_mov_b64 exec, s[54:55]                                   // 000000005C90: BEFE0136
	global_atomic_pk_add_bf16 v4, v61, s[16:17]                // 000000005C94: DD488000 00103D04
	s_addk_i32 s33, 0x1                                        // 000000005C9C: B7210001
	s_cmp_lt_i32 s33, s51                                      // 000000005CA0: BF043321
	s_cbranch_scc0 label_0E8B                                  // 000000005CA4: BF8401A1
	s_mov_b32 s54, 0                                           // 000000005CA8: BEB60080
	s_mov_b32 s55, -1                                          // 000000005CAC: BEB700C1
	s_mov_b64 exec, s[54:55]                                   // 000000005CB0: BEFE0136
	global_atomic_pk_add_bf16 v4, v61, s[16:17]                // 000000005CB4: DD488000 00103D04
	s_addk_i32 s33, 0x1                                        // 000000005CBC: B7210001
	s_mov_b32 s54, -1                                          // 000000005CC0: BEB600C1
	s_mov_b32 s55, -1                                          // 000000005CC4: BEB700C1
	s_mov_b64 exec, s[54:55]                                   // 000000005CC8: BEFE0136
	v_add_u32_e64 v4, v4, s31                                  // 000000005CCC: D1340004 00003F04
	s_cmp_lt_i32 s33, s51                                      // 000000005CD4: BF043321
	s_cbranch_scc0 label_0E8B                                  // 000000005CD8: BF840194
	s_mov_b32 s54, -1                                          // 000000005CDC: BEB600C1
	s_mov_b32 s55, 0                                           // 000000005CE0: BEB70080
	s_mov_b64 exec, s[54:55]                                   // 000000005CE4: BEFE0136
	global_atomic_pk_add_bf16 v4, v62, s[16:17]                // 000000005CE8: DD488000 00103E04
	s_addk_i32 s33, 0x1                                        // 000000005CF0: B7210001
	s_cmp_lt_i32 s33, s51                                      // 000000005CF4: BF043321
	s_cbranch_scc0 label_0E8B                                  // 000000005CF8: BF84018C
	s_mov_b32 s54, 0                                           // 000000005CFC: BEB60080
	s_mov_b32 s55, -1                                          // 000000005D00: BEB700C1
	s_mov_b64 exec, s[54:55]                                   // 000000005D04: BEFE0136
	global_atomic_pk_add_bf16 v4, v62, s[16:17]                // 000000005D08: DD488000 00103E04
	s_addk_i32 s33, 0x1                                        // 000000005D10: B7210001
	s_mov_b32 s54, -1                                          // 000000005D14: BEB600C1
	s_mov_b32 s55, -1                                          // 000000005D18: BEB700C1
	s_mov_b64 exec, s[54:55]                                   // 000000005D1C: BEFE0136
	v_add_u32_e64 v4, v4, s31                                  // 000000005D20: D1340004 00003F04
	s_cmp_lt_i32 s33, s51                                      // 000000005D28: BF043321
	s_cbranch_scc0 label_0E8B                                  // 000000005D2C: BF84017F
	s_mov_b32 s54, -1                                          // 000000005D30: BEB600C1
	s_mov_b32 s55, 0                                           // 000000005D34: BEB70080
	s_mov_b64 exec, s[54:55]                                   // 000000005D38: BEFE0136
	global_atomic_pk_add_bf16 v4, v63, s[16:17]                // 000000005D3C: DD488000 00103F04
	s_addk_i32 s33, 0x1                                        // 000000005D44: B7210001
	s_cmp_lt_i32 s33, s51                                      // 000000005D48: BF043321
	s_cbranch_scc0 label_0E8B                                  // 000000005D4C: BF840177
	s_mov_b32 s54, 0                                           // 000000005D50: BEB60080
	s_mov_b32 s55, -1                                          // 000000005D54: BEB700C1
	s_mov_b64 exec, s[54:55]                                   // 000000005D58: BEFE0136
	global_atomic_pk_add_bf16 v4, v63, s[16:17]                // 000000005D5C: DD488000 00103F04
	s_addk_i32 s33, 0x1                                        // 000000005D64: B7210001
	s_mov_b32 s54, -1                                          // 000000005D68: BEB600C1
	s_mov_b32 s55, -1                                          // 000000005D6C: BEB700C1
	s_mov_b64 exec, s[54:55]                                   // 000000005D70: BEFE0136
	v_add_u32_e64 v4, v4, s31                                  // 000000005D74: D1340004 00003F04
	s_cmp_lt_i32 s33, s51                                      // 000000005D7C: BF043321
	s_cbranch_scc0 label_0E8B                                  // 000000005D80: BF84016A
	s_mov_b32 s54, -1                                          // 000000005D84: BEB600C1
	s_mov_b32 s55, 0                                           // 000000005D88: BEB70080
	s_mov_b64 exec, s[54:55]                                   // 000000005D8C: BEFE0136
	global_atomic_pk_add_bf16 v4, v64, s[16:17]                // 000000005D90: DD488000 00104004
	s_addk_i32 s33, 0x1                                        // 000000005D98: B7210001
	s_cmp_lt_i32 s33, s51                                      // 000000005D9C: BF043321
	s_cbranch_scc0 label_0E8B                                  // 000000005DA0: BF840162
	s_mov_b32 s54, 0                                           // 000000005DA4: BEB60080
	s_mov_b32 s55, -1                                          // 000000005DA8: BEB700C1
	s_mov_b64 exec, s[54:55]                                   // 000000005DAC: BEFE0136
	global_atomic_pk_add_bf16 v4, v64, s[16:17]                // 000000005DB0: DD488000 00104004
	s_addk_i32 s33, 0x1                                        // 000000005DB8: B7210001
	s_mov_b32 s54, -1                                          // 000000005DBC: BEB600C1
	s_mov_b32 s55, -1                                          // 000000005DC0: BEB700C1
	s_mov_b64 exec, s[54:55]                                   // 000000005DC4: BEFE0136
	v_add_u32_e64 v4, v4, s31                                  // 000000005DC8: D1340004 00003F04
	s_cmp_lt_i32 s33, s51                                      // 000000005DD0: BF043321
	s_cbranch_scc0 label_0E8B                                  // 000000005DD4: BF840155
	s_mov_b32 s54, -1                                          // 000000005DD8: BEB600C1
	s_mov_b32 s55, 0                                           // 000000005DDC: BEB70080
	s_mov_b64 exec, s[54:55]                                   // 000000005DE0: BEFE0136
	global_atomic_pk_add_bf16 v4, v65, s[16:17]                // 000000005DE4: DD488000 00104104
	s_addk_i32 s33, 0x1                                        // 000000005DEC: B7210001
	s_cmp_lt_i32 s33, s51                                      // 000000005DF0: BF043321
	s_cbranch_scc0 label_0E8B                                  // 000000005DF4: BF84014D
	s_mov_b32 s54, 0                                           // 000000005DF8: BEB60080
	s_mov_b32 s55, -1                                          // 000000005DFC: BEB700C1
	s_mov_b64 exec, s[54:55]                                   // 000000005E00: BEFE0136
	global_atomic_pk_add_bf16 v4, v65, s[16:17]                // 000000005E04: DD488000 00104104
	s_addk_i32 s33, 0x1                                        // 000000005E0C: B7210001
	s_mov_b32 s54, -1                                          // 000000005E10: BEB600C1
	s_mov_b32 s55, -1                                          // 000000005E14: BEB700C1
	s_mov_b64 exec, s[54:55]                                   // 000000005E18: BEFE0136
	v_add_u32_e64 v4, v4, s31                                  // 000000005E1C: D1340004 00003F04
	s_cmp_lt_i32 s33, s51                                      // 000000005E24: BF043321
	s_cbranch_scc0 label_0E8B                                  // 000000005E28: BF840140
	s_mov_b32 s54, -1                                          // 000000005E2C: BEB600C1
	s_mov_b32 s55, 0                                           // 000000005E30: BEB70080
	s_mov_b64 exec, s[54:55]                                   // 000000005E34: BEFE0136
	global_atomic_pk_add_bf16 v4, v66, s[16:17]                // 000000005E38: DD488000 00104204
	s_addk_i32 s33, 0x1                                        // 000000005E40: B7210001
	s_cmp_lt_i32 s33, s51                                      // 000000005E44: BF043321
	s_cbranch_scc0 label_0E8B                                  // 000000005E48: BF840138
	s_mov_b32 s54, 0                                           // 000000005E4C: BEB60080
	s_mov_b32 s55, -1                                          // 000000005E50: BEB700C1
	s_mov_b64 exec, s[54:55]                                   // 000000005E54: BEFE0136
	global_atomic_pk_add_bf16 v4, v66, s[16:17]                // 000000005E58: DD488000 00104204
	s_addk_i32 s33, 0x1                                        // 000000005E60: B7210001
	s_mov_b32 s54, -1                                          // 000000005E64: BEB600C1
	s_mov_b32 s55, -1                                          // 000000005E68: BEB700C1
	s_mov_b64 exec, s[54:55]                                   // 000000005E6C: BEFE0136
	v_add_u32_e64 v4, v4, s31                                  // 000000005E70: D1340004 00003F04
	s_cmp_lt_i32 s33, s51                                      // 000000005E78: BF043321
	s_cbranch_scc0 label_0E8B                                  // 000000005E7C: BF84012B
	s_mov_b32 s54, -1                                          // 000000005E80: BEB600C1
	s_mov_b32 s55, 0                                           // 000000005E84: BEB70080
	s_mov_b64 exec, s[54:55]                                   // 000000005E88: BEFE0136
	global_atomic_pk_add_bf16 v4, v67, s[16:17]                // 000000005E8C: DD488000 00104304
	s_addk_i32 s33, 0x1                                        // 000000005E94: B7210001
	s_cmp_lt_i32 s33, s51                                      // 000000005E98: BF043321
	s_cbranch_scc0 label_0E8B                                  // 000000005E9C: BF840123
	s_mov_b32 s54, 0                                           // 000000005EA0: BEB60080
	s_mov_b32 s55, -1                                          // 000000005EA4: BEB700C1
	s_mov_b64 exec, s[54:55]                                   // 000000005EA8: BEFE0136
	global_atomic_pk_add_bf16 v4, v67, s[16:17]                // 000000005EAC: DD488000 00104304
	s_addk_i32 s33, 0x1                                        // 000000005EB4: B7210001
	s_mov_b32 s54, -1                                          // 000000005EB8: BEB600C1
	s_mov_b32 s55, -1                                          // 000000005EBC: BEB700C1
	s_mov_b64 exec, s[54:55]                                   // 000000005EC0: BEFE0136
	v_add_u32_e64 v4, v4, s31                                  // 000000005EC4: D1340004 00003F04
	s_cmp_lt_i32 s33, s51                                      // 000000005ECC: BF043321
	s_cbranch_scc0 label_0E8B                                  // 000000005ED0: BF840116
	s_mov_b32 s54, -1                                          // 000000005ED4: BEB600C1
	s_mov_b32 s55, 0                                           // 000000005ED8: BEB70080
	s_mov_b64 exec, s[54:55]                                   // 000000005EDC: BEFE0136
	global_atomic_pk_add_bf16 v4, v68, s[16:17]                // 000000005EE0: DD488000 00104404
	s_addk_i32 s33, 0x1                                        // 000000005EE8: B7210001
	s_cmp_lt_i32 s33, s51                                      // 000000005EEC: BF043321
	s_cbranch_scc0 label_0E8B                                  // 000000005EF0: BF84010E
	s_mov_b32 s54, 0                                           // 000000005EF4: BEB60080
	s_mov_b32 s55, -1                                          // 000000005EF8: BEB700C1
	s_mov_b64 exec, s[54:55]                                   // 000000005EFC: BEFE0136
	global_atomic_pk_add_bf16 v4, v68, s[16:17]                // 000000005F00: DD488000 00104404
	s_addk_i32 s33, 0x1                                        // 000000005F08: B7210001
	s_mov_b32 s54, -1                                          // 000000005F0C: BEB600C1
	s_mov_b32 s55, -1                                          // 000000005F10: BEB700C1
	s_mov_b64 exec, s[54:55]                                   // 000000005F14: BEFE0136
	v_add_u32_e64 v4, v4, s31                                  // 000000005F18: D1340004 00003F04
	s_cmp_lt_i32 s33, s51                                      // 000000005F20: BF043321
	s_cbranch_scc0 label_0E8B                                  // 000000005F24: BF840101
	s_mov_b32 s54, -1                                          // 000000005F28: BEB600C1
	s_mov_b32 s55, 0                                           // 000000005F2C: BEB70080
	s_mov_b64 exec, s[54:55]                                   // 000000005F30: BEFE0136
	global_atomic_pk_add_bf16 v4, v69, s[16:17]                // 000000005F34: DD488000 00104504
	s_addk_i32 s33, 0x1                                        // 000000005F3C: B7210001
	s_cmp_lt_i32 s33, s51                                      // 000000005F40: BF043321
	s_cbranch_scc0 label_0E8B                                  // 000000005F44: BF8400F9
	s_mov_b32 s54, 0                                           // 000000005F48: BEB60080
	s_mov_b32 s55, -1                                          // 000000005F4C: BEB700C1
	s_mov_b64 exec, s[54:55]                                   // 000000005F50: BEFE0136
	global_atomic_pk_add_bf16 v4, v69, s[16:17]                // 000000005F54: DD488000 00104504
	s_addk_i32 s33, 0x1                                        // 000000005F5C: B7210001
	s_mov_b32 s54, -1                                          // 000000005F60: BEB600C1
	s_mov_b32 s55, -1                                          // 000000005F64: BEB700C1
	s_mov_b64 exec, s[54:55]                                   // 000000005F68: BEFE0136
	v_add_u32_e64 v4, v4, s31                                  // 000000005F6C: D1340004 00003F04
	s_cmp_lt_i32 s33, s51                                      // 000000005F74: BF043321
	s_cbranch_scc0 label_0E8B                                  // 000000005F78: BF8400EC
	s_mov_b32 s54, -1                                          // 000000005F7C: BEB600C1
	s_mov_b32 s55, 0                                           // 000000005F80: BEB70080
	s_mov_b64 exec, s[54:55]                                   // 000000005F84: BEFE0136
	global_atomic_pk_add_bf16 v4, v70, s[16:17]                // 000000005F88: DD488000 00104604
	s_addk_i32 s33, 0x1                                        // 000000005F90: B7210001
	s_cmp_lt_i32 s33, s51                                      // 000000005F94: BF043321
	s_cbranch_scc0 label_0E8B                                  // 000000005F98: BF8400E4
	s_mov_b32 s54, 0                                           // 000000005F9C: BEB60080
	s_mov_b32 s55, -1                                          // 000000005FA0: BEB700C1
	s_mov_b64 exec, s[54:55]                                   // 000000005FA4: BEFE0136
	global_atomic_pk_add_bf16 v4, v70, s[16:17]                // 000000005FA8: DD488000 00104604
	s_addk_i32 s33, 0x1                                        // 000000005FB0: B7210001
	s_mov_b32 s54, -1                                          // 000000005FB4: BEB600C1
	s_mov_b32 s55, -1                                          // 000000005FB8: BEB700C1
	s_mov_b64 exec, s[54:55]                                   // 000000005FBC: BEFE0136
	v_add_u32_e64 v4, v4, s31                                  // 000000005FC0: D1340004 00003F04
	s_cmp_lt_i32 s33, s51                                      // 000000005FC8: BF043321
	s_cbranch_scc0 label_0E8B                                  // 000000005FCC: BF8400D7
	s_mov_b32 s54, -1                                          // 000000005FD0: BEB600C1
	s_mov_b32 s55, 0                                           // 000000005FD4: BEB70080
	s_mov_b64 exec, s[54:55]                                   // 000000005FD8: BEFE0136
	global_atomic_pk_add_bf16 v4, v71, s[16:17]                // 000000005FDC: DD488000 00104704
	s_addk_i32 s33, 0x1                                        // 000000005FE4: B7210001
	s_cmp_lt_i32 s33, s51                                      // 000000005FE8: BF043321
	s_cbranch_scc0 label_0E8B                                  // 000000005FEC: BF8400CF
	s_mov_b32 s54, 0                                           // 000000005FF0: BEB60080
	s_mov_b32 s55, -1                                          // 000000005FF4: BEB700C1
	s_mov_b64 exec, s[54:55]                                   // 000000005FF8: BEFE0136
	global_atomic_pk_add_bf16 v4, v71, s[16:17]                // 000000005FFC: DD488000 00104704
	s_addk_i32 s33, 0x1                                        // 000000006004: B7210001
	s_mov_b32 s54, -1                                          // 000000006008: BEB600C1
	s_mov_b32 s55, -1                                          // 00000000600C: BEB700C1
	s_mov_b64 exec, s[54:55]                                   // 000000006010: BEFE0136
	v_add_u32_e64 v4, v4, s31                                  // 000000006014: D1340004 00003F04
	s_branch label_0E8B                                        // 00000000601C: BF8200C3

0000000000006020 <label_0DC8>:
	s_cmp_lt_u32 s50, 1                                        // 000000006020: BF0A8132
	s_cbranch_scc0 label_0DD7                                  // 000000006024: BF84000D
	buffer_store_dwordx4 v[36:39], v12, s[16:19], 0 offen      // 000000006028: E07C1000 8004240C
	buffer_store_dwordx4 v[40:43], v13, s[16:19], 0 offen      // 000000006030: E07C1000 8004280D
	buffer_store_dwordx4 v[44:47], v14, s[16:19], 0 offen      // 000000006038: E07C1000 80042C0E
	buffer_store_dwordx4 v[48:51], v15, s[16:19], 0 offen      // 000000006040: E07C1000 8004300F
	buffer_store_dwordx4 v[52:55], v16, s[16:19], 0 offen      // 000000006048: E07C1000 80043410
	buffer_store_dwordx4 v[56:59], v17, s[16:19], 0 offen      // 000000006050: E07C1000 80043811
	s_branch label_0E8B                                        // 000000006058: BF8200B4

000000000000605c <label_0DD7>:
	v_cmp_u_f32_e64 s[56:57], v36, v36                         // 00000000605C: D0480038 00024924
	v_add3_u32 v8, v36, v11, 1                                 // 000000006064: D1FF0008 02061724
	v_cndmask_b32_e64 v4, v8, v10, s[56:57]                    // 00000000606C: D1000004 00E21508
	v_cmp_u_f32_e64 s[56:57], v37, v37                         // 000000006074: D0480038 00024B25
	v_add3_u32 v8, v37, v11, 1                                 // 00000000607C: D1FF0008 02061725
	v_cndmask_b32_e64 v5, v8, v10, s[56:57]                    // 000000006084: D1000005 00E21508
	v_perm_b32 v60, v5, v4, s35                                // 00000000608C: D1ED003C 008E0905
	v_cmp_u_f32_e64 s[56:57], v38, v38                         // 000000006094: D0480038 00024D26
	v_add3_u32 v8, v38, v11, 1                                 // 00000000609C: D1FF0008 02061726
	v_cndmask_b32_e64 v4, v8, v10, s[56:57]                    // 0000000060A4: D1000004 00E21508
	v_cmp_u_f32_e64 s[56:57], v39, v39                         // 0000000060AC: D0480038 00024F27
	v_add3_u32 v8, v39, v11, 1                                 // 0000000060B4: D1FF0008 02061727
	v_cndmask_b32_e64 v5, v8, v10, s[56:57]                    // 0000000060BC: D1000005 00E21508
	v_perm_b32 v61, v5, v4, s35                                // 0000000060C4: D1ED003D 008E0905
	buffer_store_dwordx2 v[60:61], v12, s[16:19], 0 offen      // 0000000060CC: E0741000 80043C0C
	v_cmp_u_f32_e64 s[56:57], v40, v40                         // 0000000060D4: D0480038 00025128
	v_add3_u32 v8, v40, v11, 1                                 // 0000000060DC: D1FF0008 02061728
	v_cndmask_b32_e64 v4, v8, v10, s[56:57]                    // 0000000060E4: D1000004 00E21508
	v_cmp_u_f32_e64 s[56:57], v41, v41                         // 0000000060EC: D0480038 00025329
	v_add3_u32 v8, v41, v11, 1                                 // 0000000060F4: D1FF0008 02061729
	v_cndmask_b32_e64 v5, v8, v10, s[56:57]                    // 0000000060FC: D1000005 00E21508
	v_perm_b32 v62, v5, v4, s35                                // 000000006104: D1ED003E 008E0905
	v_cmp_u_f32_e64 s[56:57], v42, v42                         // 00000000610C: D0480038 0002552A
	v_add3_u32 v8, v42, v11, 1                                 // 000000006114: D1FF0008 0206172A
	v_cndmask_b32_e64 v4, v8, v10, s[56:57]                    // 00000000611C: D1000004 00E21508
	v_cmp_u_f32_e64 s[56:57], v43, v43                         // 000000006124: D0480038 0002572B
	v_add3_u32 v8, v43, v11, 1                                 // 00000000612C: D1FF0008 0206172B
	v_cndmask_b32_e64 v5, v8, v10, s[56:57]                    // 000000006134: D1000005 00E21508
	v_perm_b32 v63, v5, v4, s35                                // 00000000613C: D1ED003F 008E0905
	buffer_store_dwordx2 v[62:63], v13, s[16:19], 0 offen      // 000000006144: E0741000 80043E0D
	v_cmp_u_f32_e64 s[56:57], v44, v44                         // 00000000614C: D0480038 0002592C
	v_add3_u32 v8, v44, v11, 1                                 // 000000006154: D1FF0008 0206172C
	v_cndmask_b32_e64 v4, v8, v10, s[56:57]                    // 00000000615C: D1000004 00E21508
	v_cmp_u_f32_e64 s[56:57], v45, v45                         // 000000006164: D0480038 00025B2D
	v_add3_u32 v8, v45, v11, 1                                 // 00000000616C: D1FF0008 0206172D
	v_cndmask_b32_e64 v5, v8, v10, s[56:57]                    // 000000006174: D1000005 00E21508
	v_perm_b32 v64, v5, v4, s35                                // 00000000617C: D1ED0040 008E0905
	v_cmp_u_f32_e64 s[56:57], v46, v46                         // 000000006184: D0480038 00025D2E
	v_add3_u32 v8, v46, v11, 1                                 // 00000000618C: D1FF0008 0206172E
	v_cndmask_b32_e64 v4, v8, v10, s[56:57]                    // 000000006194: D1000004 00E21508
	v_cmp_u_f32_e64 s[56:57], v47, v47                         // 00000000619C: D0480038 00025F2F
	v_add3_u32 v8, v47, v11, 1                                 // 0000000061A4: D1FF0008 0206172F
	v_cndmask_b32_e64 v5, v8, v10, s[56:57]                    // 0000000061AC: D1000005 00E21508
	v_perm_b32 v65, v5, v4, s35                                // 0000000061B4: D1ED0041 008E0905
	buffer_store_dwordx2 v[64:65], v14, s[16:19], 0 offen      // 0000000061BC: E0741000 8004400E
	v_cmp_u_f32_e64 s[56:57], v48, v48                         // 0000000061C4: D0480038 00026130
	v_add3_u32 v8, v48, v11, 1                                 // 0000000061CC: D1FF0008 02061730
	v_cndmask_b32_e64 v4, v8, v10, s[56:57]                    // 0000000061D4: D1000004 00E21508
	v_cmp_u_f32_e64 s[56:57], v49, v49                         // 0000000061DC: D0480038 00026331
	v_add3_u32 v8, v49, v11, 1                                 // 0000000061E4: D1FF0008 02061731
	v_cndmask_b32_e64 v5, v8, v10, s[56:57]                    // 0000000061EC: D1000005 00E21508
	v_perm_b32 v66, v5, v4, s35                                // 0000000061F4: D1ED0042 008E0905
	v_cmp_u_f32_e64 s[56:57], v50, v50                         // 0000000061FC: D0480038 00026532
	v_add3_u32 v8, v50, v11, 1                                 // 000000006204: D1FF0008 02061732
	v_cndmask_b32_e64 v4, v8, v10, s[56:57]                    // 00000000620C: D1000004 00E21508
	v_cmp_u_f32_e64 s[56:57], v51, v51                         // 000000006214: D0480038 00026733
	v_add3_u32 v8, v51, v11, 1                                 // 00000000621C: D1FF0008 02061733
	v_cndmask_b32_e64 v5, v8, v10, s[56:57]                    // 000000006224: D1000005 00E21508
	v_perm_b32 v67, v5, v4, s35                                // 00000000622C: D1ED0043 008E0905
	buffer_store_dwordx2 v[66:67], v15, s[16:19], 0 offen      // 000000006234: E0741000 8004420F
	v_cmp_u_f32_e64 s[56:57], v52, v52                         // 00000000623C: D0480038 00026934
	v_add3_u32 v8, v52, v11, 1                                 // 000000006244: D1FF0008 02061734
	v_cndmask_b32_e64 v4, v8, v10, s[56:57]                    // 00000000624C: D1000004 00E21508
	v_cmp_u_f32_e64 s[56:57], v53, v53                         // 000000006254: D0480038 00026B35
	v_add3_u32 v8, v53, v11, 1                                 // 00000000625C: D1FF0008 02061735
	v_cndmask_b32_e64 v5, v8, v10, s[56:57]                    // 000000006264: D1000005 00E21508
	v_perm_b32 v68, v5, v4, s35                                // 00000000626C: D1ED0044 008E0905
	v_cmp_u_f32_e64 s[56:57], v54, v54                         // 000000006274: D0480038 00026D36
	v_add3_u32 v8, v54, v11, 1                                 // 00000000627C: D1FF0008 02061736
	v_cndmask_b32_e64 v4, v8, v10, s[56:57]                    // 000000006284: D1000004 00E21508
	v_cmp_u_f32_e64 s[56:57], v55, v55                         // 00000000628C: D0480038 00026F37
	v_add3_u32 v8, v55, v11, 1                                 // 000000006294: D1FF0008 02061737
	v_cndmask_b32_e64 v5, v8, v10, s[56:57]                    // 00000000629C: D1000005 00E21508
	v_perm_b32 v69, v5, v4, s35                                // 0000000062A4: D1ED0045 008E0905
	buffer_store_dwordx2 v[68:69], v16, s[16:19], 0 offen      // 0000000062AC: E0741000 80044410
	v_cmp_u_f32_e64 s[56:57], v56, v56                         // 0000000062B4: D0480038 00027138
	v_add3_u32 v8, v56, v11, 1                                 // 0000000062BC: D1FF0008 02061738
	v_cndmask_b32_e64 v4, v8, v10, s[56:57]                    // 0000000062C4: D1000004 00E21508
	v_cmp_u_f32_e64 s[56:57], v57, v57                         // 0000000062CC: D0480038 00027339
	v_add3_u32 v8, v57, v11, 1                                 // 0000000062D4: D1FF0008 02061739
	v_cndmask_b32_e64 v5, v8, v10, s[56:57]                    // 0000000062DC: D1000005 00E21508
	v_perm_b32 v70, v5, v4, s35                                // 0000000062E4: D1ED0046 008E0905
	v_cmp_u_f32_e64 s[56:57], v58, v58                         // 0000000062EC: D0480038 0002753A
	v_add3_u32 v8, v58, v11, 1                                 // 0000000062F4: D1FF0008 0206173A
	v_cndmask_b32_e64 v4, v8, v10, s[56:57]                    // 0000000062FC: D1000004 00E21508
	v_cmp_u_f32_e64 s[56:57], v59, v59                         // 000000006304: D0480038 0002773B
	v_add3_u32 v8, v59, v11, 1                                 // 00000000630C: D1FF0008 0206173B
	v_cndmask_b32_e64 v5, v8, v10, s[56:57]                    // 000000006314: D1000005 00E21508
	v_perm_b32 v71, v5, v4, s35                                // 00000000631C: D1ED0047 008E0905
	buffer_store_dwordx2 v[70:71], v17, s[16:19], 0 offen      // 000000006324: E0741000 80044611

000000000000632c <label_0E8B>:
	s_waitcnt vmcnt(0) expcnt(0) lgkmcnt(0)                    // 00000000632C: BF8C0000
	s_endpgm                                                   // 000000006330: BF810000
